;; amdgpu-corpus repo=ROCm/hipCUB kind=compiled arch=gfx1100 opt=O3
	.text
	.amdgcn_target "amdgcn-amd-amdhsa--gfx1100"
	.amdhsa_code_object_version 6
	.section	.text._Z16warp_load_kernelILj256ELj4ELj32ELN6hipcub17WarpLoadAlgorithmE0EiEvPT3_S3_,"axG",@progbits,_Z16warp_load_kernelILj256ELj4ELj32ELN6hipcub17WarpLoadAlgorithmE0EiEvPT3_S3_,comdat
	.protected	_Z16warp_load_kernelILj256ELj4ELj32ELN6hipcub17WarpLoadAlgorithmE0EiEvPT3_S3_ ; -- Begin function _Z16warp_load_kernelILj256ELj4ELj32ELN6hipcub17WarpLoadAlgorithmE0EiEvPT3_S3_
	.globl	_Z16warp_load_kernelILj256ELj4ELj32ELN6hipcub17WarpLoadAlgorithmE0EiEvPT3_S3_
	.p2align	8
	.type	_Z16warp_load_kernelILj256ELj4ELj32ELN6hipcub17WarpLoadAlgorithmE0EiEvPT3_S3_,@function
_Z16warp_load_kernelILj256ELj4ELj32ELN6hipcub17WarpLoadAlgorithmE0EiEvPT3_S3_: ; @_Z16warp_load_kernelILj256ELj4ELj32ELN6hipcub17WarpLoadAlgorithmE0EiEvPT3_S3_
; %bb.0:
	s_load_b128 s[0:3], s[0:1], 0x0
	v_dual_mov_b32 v6, 0 :: v_dual_lshlrev_b32 v1, 2, v0
	s_lshl_b32 s4, s15, 10
	v_mbcnt_lo_u32_b32 v3, -1, 0
	s_delay_alu instid0(VALU_DEP_2) | instskip(NEXT) | instid1(VALU_DEP_3)
	v_and_or_b32 v5, 0x380, v1, s4
	v_mov_b32_e32 v8, v6
	s_delay_alu instid0(VALU_DEP_3) | instskip(NEXT) | instid1(VALU_DEP_3)
	v_dual_mov_b32 v10, v6 :: v_dual_lshlrev_b32 v3, 4, v3
	v_lshlrev_b64 v[1:2], 2, v[5:6]
	v_or_b32_e32 v5, s4, v0
	s_delay_alu instid0(VALU_DEP_1)
	v_or_b32_e32 v7, 0x100, v5
	v_lshlrev_b64 v[11:12], 2, v[5:6]
	v_or_b32_e32 v9, 0x200, v5
	s_waitcnt lgkmcnt(0)
	v_add_co_u32 v1, vcc_lo, s0, v1
	v_add_co_ci_u32_e32 v2, vcc_lo, s1, v2, vcc_lo
	v_lshlrev_b64 v[7:8], 2, v[7:8]
	s_delay_alu instid0(VALU_DEP_3) | instskip(NEXT) | instid1(VALU_DEP_3)
	v_add_co_u32 v1, vcc_lo, v1, v3
	v_add_co_ci_u32_e32 v2, vcc_lo, 0, v2, vcc_lo
	v_or_b32_e32 v5, 0x300, v5
	v_lshlrev_b64 v[9:10], 2, v[9:10]
	v_add_co_u32 v11, vcc_lo, s2, v11
	global_load_b128 v[1:4], v[1:2], off
	v_add_co_ci_u32_e32 v12, vcc_lo, s3, v12, vcc_lo
	v_lshlrev_b64 v[5:6], 2, v[5:6]
	v_add_co_u32 v7, vcc_lo, s2, v7
	v_add_co_ci_u32_e32 v8, vcc_lo, s3, v8, vcc_lo
	v_add_co_u32 v9, vcc_lo, s2, v9
	v_add_co_ci_u32_e32 v10, vcc_lo, s3, v10, vcc_lo
	;; [unrolled: 2-line block ×3, first 2 shown]
	s_waitcnt vmcnt(0)
	s_clause 0x3
	global_store_b32 v[11:12], v1, off
	global_store_b32 v[7:8], v2, off
	;; [unrolled: 1-line block ×4, first 2 shown]
	s_nop 0
	s_sendmsg sendmsg(MSG_DEALLOC_VGPRS)
	s_endpgm
	.section	.rodata,"a",@progbits
	.p2align	6, 0x0
	.amdhsa_kernel _Z16warp_load_kernelILj256ELj4ELj32ELN6hipcub17WarpLoadAlgorithmE0EiEvPT3_S3_
		.amdhsa_group_segment_fixed_size 0
		.amdhsa_private_segment_fixed_size 0
		.amdhsa_kernarg_size 16
		.amdhsa_user_sgpr_count 15
		.amdhsa_user_sgpr_dispatch_ptr 0
		.amdhsa_user_sgpr_queue_ptr 0
		.amdhsa_user_sgpr_kernarg_segment_ptr 1
		.amdhsa_user_sgpr_dispatch_id 0
		.amdhsa_user_sgpr_private_segment_size 0
		.amdhsa_wavefront_size32 1
		.amdhsa_uses_dynamic_stack 0
		.amdhsa_enable_private_segment 0
		.amdhsa_system_sgpr_workgroup_id_x 1
		.amdhsa_system_sgpr_workgroup_id_y 0
		.amdhsa_system_sgpr_workgroup_id_z 0
		.amdhsa_system_sgpr_workgroup_info 0
		.amdhsa_system_vgpr_workitem_id 0
		.amdhsa_next_free_vgpr 13
		.amdhsa_next_free_sgpr 16
		.amdhsa_reserve_vcc 1
		.amdhsa_float_round_mode_32 0
		.amdhsa_float_round_mode_16_64 0
		.amdhsa_float_denorm_mode_32 3
		.amdhsa_float_denorm_mode_16_64 3
		.amdhsa_dx10_clamp 1
		.amdhsa_ieee_mode 1
		.amdhsa_fp16_overflow 0
		.amdhsa_workgroup_processor_mode 1
		.amdhsa_memory_ordered 1
		.amdhsa_forward_progress 0
		.amdhsa_shared_vgpr_count 0
		.amdhsa_exception_fp_ieee_invalid_op 0
		.amdhsa_exception_fp_denorm_src 0
		.amdhsa_exception_fp_ieee_div_zero 0
		.amdhsa_exception_fp_ieee_overflow 0
		.amdhsa_exception_fp_ieee_underflow 0
		.amdhsa_exception_fp_ieee_inexact 0
		.amdhsa_exception_int_div_zero 0
	.end_amdhsa_kernel
	.section	.text._Z16warp_load_kernelILj256ELj4ELj32ELN6hipcub17WarpLoadAlgorithmE0EiEvPT3_S3_,"axG",@progbits,_Z16warp_load_kernelILj256ELj4ELj32ELN6hipcub17WarpLoadAlgorithmE0EiEvPT3_S3_,comdat
.Lfunc_end0:
	.size	_Z16warp_load_kernelILj256ELj4ELj32ELN6hipcub17WarpLoadAlgorithmE0EiEvPT3_S3_, .Lfunc_end0-_Z16warp_load_kernelILj256ELj4ELj32ELN6hipcub17WarpLoadAlgorithmE0EiEvPT3_S3_
                                        ; -- End function
	.section	.AMDGPU.csdata,"",@progbits
; Kernel info:
; codeLenInByte = 272
; NumSgprs: 18
; NumVgprs: 13
; ScratchSize: 0
; MemoryBound: 0
; FloatMode: 240
; IeeeMode: 1
; LDSByteSize: 0 bytes/workgroup (compile time only)
; SGPRBlocks: 2
; VGPRBlocks: 1
; NumSGPRsForWavesPerEU: 18
; NumVGPRsForWavesPerEU: 13
; Occupancy: 16
; WaveLimiterHint : 0
; COMPUTE_PGM_RSRC2:SCRATCH_EN: 0
; COMPUTE_PGM_RSRC2:USER_SGPR: 15
; COMPUTE_PGM_RSRC2:TRAP_HANDLER: 0
; COMPUTE_PGM_RSRC2:TGID_X_EN: 1
; COMPUTE_PGM_RSRC2:TGID_Y_EN: 0
; COMPUTE_PGM_RSRC2:TGID_Z_EN: 0
; COMPUTE_PGM_RSRC2:TIDIG_COMP_CNT: 0
	.section	.text._Z16warp_load_kernelILj256ELj4ELj32ELN6hipcub17WarpLoadAlgorithmE1EiEvPT3_S3_,"axG",@progbits,_Z16warp_load_kernelILj256ELj4ELj32ELN6hipcub17WarpLoadAlgorithmE1EiEvPT3_S3_,comdat
	.protected	_Z16warp_load_kernelILj256ELj4ELj32ELN6hipcub17WarpLoadAlgorithmE1EiEvPT3_S3_ ; -- Begin function _Z16warp_load_kernelILj256ELj4ELj32ELN6hipcub17WarpLoadAlgorithmE1EiEvPT3_S3_
	.globl	_Z16warp_load_kernelILj256ELj4ELj32ELN6hipcub17WarpLoadAlgorithmE1EiEvPT3_S3_
	.p2align	8
	.type	_Z16warp_load_kernelILj256ELj4ELj32ELN6hipcub17WarpLoadAlgorithmE1EiEvPT3_S3_,@function
_Z16warp_load_kernelILj256ELj4ELj32ELN6hipcub17WarpLoadAlgorithmE1EiEvPT3_S3_: ; @_Z16warp_load_kernelILj256ELj4ELj32ELN6hipcub17WarpLoadAlgorithmE1EiEvPT3_S3_
; %bb.0:
	s_load_b128 s[0:3], s[0:1], 0x0
	v_dual_mov_b32 v2, 0 :: v_dual_lshlrev_b32 v1, 2, v0
	s_lshl_b32 s4, s15, 10
	v_mbcnt_lo_u32_b32 v5, -1, 0
	s_delay_alu instid0(VALU_DEP_2) | instskip(NEXT) | instid1(VALU_DEP_3)
	v_and_or_b32 v1, 0x380, v1, s4
	v_mov_b32_e32 v6, v2
	s_delay_alu instid0(VALU_DEP_2) | instskip(NEXT) | instid1(VALU_DEP_4)
	v_lshlrev_b64 v[3:4], 2, v[1:2]
	v_lshlrev_b32_e32 v1, 2, v5
	s_waitcnt lgkmcnt(0)
	s_delay_alu instid0(VALU_DEP_2) | instskip(NEXT) | instid1(VALU_DEP_3)
	v_add_co_u32 v3, vcc_lo, s0, v3
	v_add_co_ci_u32_e32 v4, vcc_lo, s1, v4, vcc_lo
	s_delay_alu instid0(VALU_DEP_2) | instskip(NEXT) | instid1(VALU_DEP_2)
	v_add_co_u32 v3, vcc_lo, v3, v1
	v_add_co_ci_u32_e32 v4, vcc_lo, 0, v4, vcc_lo
	v_or_b32_e32 v1, s4, v0
	s_clause 0x3
	global_load_b32 v9, v[3:4], off
	global_load_b32 v10, v[3:4], off offset:128
	global_load_b32 v11, v[3:4], off offset:256
	;; [unrolled: 1-line block ×3, first 2 shown]
	v_mov_b32_e32 v4, v2
	v_or_b32_e32 v3, 0x100, v1
	v_lshlrev_b64 v[7:8], 2, v[1:2]
	v_or_b32_e32 v5, 0x200, v1
	v_or_b32_e32 v1, 0x300, v1
	s_delay_alu instid0(VALU_DEP_4) | instskip(NEXT) | instid1(VALU_DEP_3)
	v_lshlrev_b64 v[3:4], 2, v[3:4]
	v_lshlrev_b64 v[5:6], 2, v[5:6]
	v_add_co_u32 v7, vcc_lo, s2, v7
	v_add_co_ci_u32_e32 v8, vcc_lo, s3, v8, vcc_lo
	v_lshlrev_b64 v[0:1], 2, v[1:2]
	v_add_co_u32 v2, vcc_lo, s2, v3
	v_add_co_ci_u32_e32 v3, vcc_lo, s3, v4, vcc_lo
	v_add_co_u32 v4, vcc_lo, s2, v5
	v_add_co_ci_u32_e32 v5, vcc_lo, s3, v6, vcc_lo
	;; [unrolled: 2-line block ×3, first 2 shown]
	s_waitcnt vmcnt(3)
	global_store_b32 v[7:8], v9, off
	s_waitcnt vmcnt(2)
	global_store_b32 v[2:3], v10, off
	s_waitcnt vmcnt(1)
	global_store_b32 v[4:5], v11, off
	s_waitcnt vmcnt(0)
	global_store_b32 v[0:1], v12, off
	s_nop 0
	s_sendmsg sendmsg(MSG_DEALLOC_VGPRS)
	s_endpgm
	.section	.rodata,"a",@progbits
	.p2align	6, 0x0
	.amdhsa_kernel _Z16warp_load_kernelILj256ELj4ELj32ELN6hipcub17WarpLoadAlgorithmE1EiEvPT3_S3_
		.amdhsa_group_segment_fixed_size 0
		.amdhsa_private_segment_fixed_size 0
		.amdhsa_kernarg_size 16
		.amdhsa_user_sgpr_count 15
		.amdhsa_user_sgpr_dispatch_ptr 0
		.amdhsa_user_sgpr_queue_ptr 0
		.amdhsa_user_sgpr_kernarg_segment_ptr 1
		.amdhsa_user_sgpr_dispatch_id 0
		.amdhsa_user_sgpr_private_segment_size 0
		.amdhsa_wavefront_size32 1
		.amdhsa_uses_dynamic_stack 0
		.amdhsa_enable_private_segment 0
		.amdhsa_system_sgpr_workgroup_id_x 1
		.amdhsa_system_sgpr_workgroup_id_y 0
		.amdhsa_system_sgpr_workgroup_id_z 0
		.amdhsa_system_sgpr_workgroup_info 0
		.amdhsa_system_vgpr_workitem_id 0
		.amdhsa_next_free_vgpr 13
		.amdhsa_next_free_sgpr 16
		.amdhsa_reserve_vcc 1
		.amdhsa_float_round_mode_32 0
		.amdhsa_float_round_mode_16_64 0
		.amdhsa_float_denorm_mode_32 3
		.amdhsa_float_denorm_mode_16_64 3
		.amdhsa_dx10_clamp 1
		.amdhsa_ieee_mode 1
		.amdhsa_fp16_overflow 0
		.amdhsa_workgroup_processor_mode 1
		.amdhsa_memory_ordered 1
		.amdhsa_forward_progress 0
		.amdhsa_shared_vgpr_count 0
		.amdhsa_exception_fp_ieee_invalid_op 0
		.amdhsa_exception_fp_denorm_src 0
		.amdhsa_exception_fp_ieee_div_zero 0
		.amdhsa_exception_fp_ieee_overflow 0
		.amdhsa_exception_fp_ieee_underflow 0
		.amdhsa_exception_fp_ieee_inexact 0
		.amdhsa_exception_int_div_zero 0
	.end_amdhsa_kernel
	.section	.text._Z16warp_load_kernelILj256ELj4ELj32ELN6hipcub17WarpLoadAlgorithmE1EiEvPT3_S3_,"axG",@progbits,_Z16warp_load_kernelILj256ELj4ELj32ELN6hipcub17WarpLoadAlgorithmE1EiEvPT3_S3_,comdat
.Lfunc_end1:
	.size	_Z16warp_load_kernelILj256ELj4ELj32ELN6hipcub17WarpLoadAlgorithmE1EiEvPT3_S3_, .Lfunc_end1-_Z16warp_load_kernelILj256ELj4ELj32ELN6hipcub17WarpLoadAlgorithmE1EiEvPT3_S3_
                                        ; -- End function
	.section	.AMDGPU.csdata,"",@progbits
; Kernel info:
; codeLenInByte = 312
; NumSgprs: 18
; NumVgprs: 13
; ScratchSize: 0
; MemoryBound: 0
; FloatMode: 240
; IeeeMode: 1
; LDSByteSize: 0 bytes/workgroup (compile time only)
; SGPRBlocks: 2
; VGPRBlocks: 1
; NumSGPRsForWavesPerEU: 18
; NumVGPRsForWavesPerEU: 13
; Occupancy: 16
; WaveLimiterHint : 1
; COMPUTE_PGM_RSRC2:SCRATCH_EN: 0
; COMPUTE_PGM_RSRC2:USER_SGPR: 15
; COMPUTE_PGM_RSRC2:TRAP_HANDLER: 0
; COMPUTE_PGM_RSRC2:TGID_X_EN: 1
; COMPUTE_PGM_RSRC2:TGID_Y_EN: 0
; COMPUTE_PGM_RSRC2:TGID_Z_EN: 0
; COMPUTE_PGM_RSRC2:TIDIG_COMP_CNT: 0
	.section	.text._Z16warp_load_kernelILj256ELj4ELj32ELN6hipcub17WarpLoadAlgorithmE2EiEvPT3_S3_,"axG",@progbits,_Z16warp_load_kernelILj256ELj4ELj32ELN6hipcub17WarpLoadAlgorithmE2EiEvPT3_S3_,comdat
	.protected	_Z16warp_load_kernelILj256ELj4ELj32ELN6hipcub17WarpLoadAlgorithmE2EiEvPT3_S3_ ; -- Begin function _Z16warp_load_kernelILj256ELj4ELj32ELN6hipcub17WarpLoadAlgorithmE2EiEvPT3_S3_
	.globl	_Z16warp_load_kernelILj256ELj4ELj32ELN6hipcub17WarpLoadAlgorithmE2EiEvPT3_S3_
	.p2align	8
	.type	_Z16warp_load_kernelILj256ELj4ELj32ELN6hipcub17WarpLoadAlgorithmE2EiEvPT3_S3_,@function
_Z16warp_load_kernelILj256ELj4ELj32ELN6hipcub17WarpLoadAlgorithmE2EiEvPT3_S3_: ; @_Z16warp_load_kernelILj256ELj4ELj32ELN6hipcub17WarpLoadAlgorithmE2EiEvPT3_S3_
; %bb.0:
	s_load_b128 s[0:3], s[0:1], 0x0
	v_dual_mov_b32 v6, 0 :: v_dual_lshlrev_b32 v1, 2, v0
	s_lshl_b32 s4, s15, 10
	v_mbcnt_lo_u32_b32 v3, -1, 0
	s_delay_alu instid0(VALU_DEP_2) | instskip(NEXT) | instid1(VALU_DEP_3)
	v_and_or_b32 v5, 0x380, v1, s4
	v_mov_b32_e32 v8, v6
	s_delay_alu instid0(VALU_DEP_3) | instskip(NEXT) | instid1(VALU_DEP_3)
	v_dual_mov_b32 v10, v6 :: v_dual_lshlrev_b32 v3, 4, v3
	v_lshlrev_b64 v[1:2], 2, v[5:6]
	v_or_b32_e32 v5, s4, v0
	s_delay_alu instid0(VALU_DEP_1)
	v_or_b32_e32 v7, 0x100, v5
	v_lshlrev_b64 v[11:12], 2, v[5:6]
	v_or_b32_e32 v9, 0x200, v5
	s_waitcnt lgkmcnt(0)
	v_add_co_u32 v1, vcc_lo, s0, v1
	v_add_co_ci_u32_e32 v2, vcc_lo, s1, v2, vcc_lo
	v_lshlrev_b64 v[7:8], 2, v[7:8]
	s_delay_alu instid0(VALU_DEP_3) | instskip(NEXT) | instid1(VALU_DEP_3)
	v_add_co_u32 v1, vcc_lo, v1, v3
	v_add_co_ci_u32_e32 v2, vcc_lo, 0, v2, vcc_lo
	v_or_b32_e32 v5, 0x300, v5
	v_lshlrev_b64 v[9:10], 2, v[9:10]
	v_add_co_u32 v11, vcc_lo, s2, v11
	global_load_b128 v[1:4], v[1:2], off
	v_add_co_ci_u32_e32 v12, vcc_lo, s3, v12, vcc_lo
	v_lshlrev_b64 v[5:6], 2, v[5:6]
	v_add_co_u32 v7, vcc_lo, s2, v7
	v_add_co_ci_u32_e32 v8, vcc_lo, s3, v8, vcc_lo
	v_add_co_u32 v9, vcc_lo, s2, v9
	v_add_co_ci_u32_e32 v10, vcc_lo, s3, v10, vcc_lo
	;; [unrolled: 2-line block ×3, first 2 shown]
	s_waitcnt vmcnt(0)
	s_clause 0x3
	global_store_b32 v[11:12], v1, off
	global_store_b32 v[7:8], v2, off
	;; [unrolled: 1-line block ×4, first 2 shown]
	s_nop 0
	s_sendmsg sendmsg(MSG_DEALLOC_VGPRS)
	s_endpgm
	.section	.rodata,"a",@progbits
	.p2align	6, 0x0
	.amdhsa_kernel _Z16warp_load_kernelILj256ELj4ELj32ELN6hipcub17WarpLoadAlgorithmE2EiEvPT3_S3_
		.amdhsa_group_segment_fixed_size 0
		.amdhsa_private_segment_fixed_size 0
		.amdhsa_kernarg_size 16
		.amdhsa_user_sgpr_count 15
		.amdhsa_user_sgpr_dispatch_ptr 0
		.amdhsa_user_sgpr_queue_ptr 0
		.amdhsa_user_sgpr_kernarg_segment_ptr 1
		.amdhsa_user_sgpr_dispatch_id 0
		.amdhsa_user_sgpr_private_segment_size 0
		.amdhsa_wavefront_size32 1
		.amdhsa_uses_dynamic_stack 0
		.amdhsa_enable_private_segment 0
		.amdhsa_system_sgpr_workgroup_id_x 1
		.amdhsa_system_sgpr_workgroup_id_y 0
		.amdhsa_system_sgpr_workgroup_id_z 0
		.amdhsa_system_sgpr_workgroup_info 0
		.amdhsa_system_vgpr_workitem_id 0
		.amdhsa_next_free_vgpr 13
		.amdhsa_next_free_sgpr 16
		.amdhsa_reserve_vcc 1
		.amdhsa_float_round_mode_32 0
		.amdhsa_float_round_mode_16_64 0
		.amdhsa_float_denorm_mode_32 3
		.amdhsa_float_denorm_mode_16_64 3
		.amdhsa_dx10_clamp 1
		.amdhsa_ieee_mode 1
		.amdhsa_fp16_overflow 0
		.amdhsa_workgroup_processor_mode 1
		.amdhsa_memory_ordered 1
		.amdhsa_forward_progress 0
		.amdhsa_shared_vgpr_count 0
		.amdhsa_exception_fp_ieee_invalid_op 0
		.amdhsa_exception_fp_denorm_src 0
		.amdhsa_exception_fp_ieee_div_zero 0
		.amdhsa_exception_fp_ieee_overflow 0
		.amdhsa_exception_fp_ieee_underflow 0
		.amdhsa_exception_fp_ieee_inexact 0
		.amdhsa_exception_int_div_zero 0
	.end_amdhsa_kernel
	.section	.text._Z16warp_load_kernelILj256ELj4ELj32ELN6hipcub17WarpLoadAlgorithmE2EiEvPT3_S3_,"axG",@progbits,_Z16warp_load_kernelILj256ELj4ELj32ELN6hipcub17WarpLoadAlgorithmE2EiEvPT3_S3_,comdat
.Lfunc_end2:
	.size	_Z16warp_load_kernelILj256ELj4ELj32ELN6hipcub17WarpLoadAlgorithmE2EiEvPT3_S3_, .Lfunc_end2-_Z16warp_load_kernelILj256ELj4ELj32ELN6hipcub17WarpLoadAlgorithmE2EiEvPT3_S3_
                                        ; -- End function
	.section	.AMDGPU.csdata,"",@progbits
; Kernel info:
; codeLenInByte = 272
; NumSgprs: 18
; NumVgprs: 13
; ScratchSize: 0
; MemoryBound: 0
; FloatMode: 240
; IeeeMode: 1
; LDSByteSize: 0 bytes/workgroup (compile time only)
; SGPRBlocks: 2
; VGPRBlocks: 1
; NumSGPRsForWavesPerEU: 18
; NumVGPRsForWavesPerEU: 13
; Occupancy: 16
; WaveLimiterHint : 0
; COMPUTE_PGM_RSRC2:SCRATCH_EN: 0
; COMPUTE_PGM_RSRC2:USER_SGPR: 15
; COMPUTE_PGM_RSRC2:TRAP_HANDLER: 0
; COMPUTE_PGM_RSRC2:TGID_X_EN: 1
; COMPUTE_PGM_RSRC2:TGID_Y_EN: 0
; COMPUTE_PGM_RSRC2:TGID_Z_EN: 0
; COMPUTE_PGM_RSRC2:TIDIG_COMP_CNT: 0
	.section	.text._Z16warp_load_kernelILj256ELj4ELj32ELN6hipcub17WarpLoadAlgorithmE3EiEvPT3_S3_,"axG",@progbits,_Z16warp_load_kernelILj256ELj4ELj32ELN6hipcub17WarpLoadAlgorithmE3EiEvPT3_S3_,comdat
	.protected	_Z16warp_load_kernelILj256ELj4ELj32ELN6hipcub17WarpLoadAlgorithmE3EiEvPT3_S3_ ; -- Begin function _Z16warp_load_kernelILj256ELj4ELj32ELN6hipcub17WarpLoadAlgorithmE3EiEvPT3_S3_
	.globl	_Z16warp_load_kernelILj256ELj4ELj32ELN6hipcub17WarpLoadAlgorithmE3EiEvPT3_S3_
	.p2align	8
	.type	_Z16warp_load_kernelILj256ELj4ELj32ELN6hipcub17WarpLoadAlgorithmE3EiEvPT3_S3_,@function
_Z16warp_load_kernelILj256ELj4ELj32ELN6hipcub17WarpLoadAlgorithmE3EiEvPT3_S3_: ; @_Z16warp_load_kernelILj256ELj4ELj32ELN6hipcub17WarpLoadAlgorithmE3EiEvPT3_S3_
; %bb.0:
	s_load_b128 s[0:3], s[0:1], 0x0
	v_lshrrev_b32_e32 v3, 5, v0
	s_lshl_b32 s4, s15, 10
	v_mbcnt_lo_u32_b32 v6, -1, 0
	v_mov_b32_e32 v5, 0
	s_delay_alu instid0(VALU_DEP_3) | instskip(SKIP_1) | instid1(VALU_DEP_3)
	v_lshl_or_b32 v4, v3, 7, s4
	v_lshlrev_b32_e32 v3, 9, v3
	v_dual_mov_b32 v7, v5 :: v_dual_lshlrev_b32 v8, 2, v6
	s_delay_alu instid0(VALU_DEP_3) | instskip(SKIP_1) | instid1(VALU_DEP_3)
	v_lshlrev_b64 v[1:2], 2, v[4:5]
	v_or_b32_e32 v4, s4, v0
	v_or_b32_e32 v15, v3, v8
	v_lshl_or_b32 v3, v6, 4, v3
	s_delay_alu instid0(VALU_DEP_3) | instskip(SKIP_4) | instid1(VALU_DEP_3)
	v_or_b32_e32 v0, 0x100, v4
	v_or_b32_e32 v6, 0x200, v4
	s_waitcnt lgkmcnt(0)
	v_add_co_u32 v1, vcc_lo, s0, v1
	v_add_co_ci_u32_e32 v2, vcc_lo, s1, v2, vcc_lo
	v_lshlrev_b64 v[6:7], 2, v[6:7]
	s_delay_alu instid0(VALU_DEP_3) | instskip(NEXT) | instid1(VALU_DEP_3)
	v_add_co_u32 v1, vcc_lo, v1, v8
	v_add_co_ci_u32_e32 v2, vcc_lo, 0, v2, vcc_lo
	v_lshlrev_b64 v[8:9], 2, v[4:5]
	v_or_b32_e32 v4, 0x300, v4
	s_clause 0x3
	global_load_b32 v12, v[1:2], off
	global_load_b32 v13, v[1:2], off offset:128
	global_load_b32 v14, v[1:2], off offset:256
	;; [unrolled: 1-line block ×3, first 2 shown]
	v_mov_b32_e32 v1, v5
	s_waitcnt vmcnt(2)
	ds_store_2addr_b32 v15, v12, v13 offset1:32
	s_waitcnt vmcnt(0)
	ds_store_2addr_b32 v15, v14, v2 offset0:64 offset1:96
	v_lshlrev_b64 v[10:11], 2, v[0:1]
	; wave barrier
	ds_load_b128 v[0:3], v3
	v_add_co_u32 v8, vcc_lo, s2, v8
	v_add_co_ci_u32_e32 v9, vcc_lo, s3, v9, vcc_lo
	v_lshlrev_b64 v[4:5], 2, v[4:5]
	v_add_co_u32 v10, vcc_lo, s2, v10
	v_add_co_ci_u32_e32 v11, vcc_lo, s3, v11, vcc_lo
	v_add_co_u32 v6, vcc_lo, s2, v6
	v_add_co_ci_u32_e32 v7, vcc_lo, s3, v7, vcc_lo
	;; [unrolled: 2-line block ×3, first 2 shown]
	s_waitcnt lgkmcnt(0)
	s_clause 0x3
	global_store_b32 v[8:9], v0, off
	global_store_b32 v[10:11], v1, off
	;; [unrolled: 1-line block ×4, first 2 shown]
	s_nop 0
	s_sendmsg sendmsg(MSG_DEALLOC_VGPRS)
	s_endpgm
	.section	.rodata,"a",@progbits
	.p2align	6, 0x0
	.amdhsa_kernel _Z16warp_load_kernelILj256ELj4ELj32ELN6hipcub17WarpLoadAlgorithmE3EiEvPT3_S3_
		.amdhsa_group_segment_fixed_size 4096
		.amdhsa_private_segment_fixed_size 0
		.amdhsa_kernarg_size 16
		.amdhsa_user_sgpr_count 15
		.amdhsa_user_sgpr_dispatch_ptr 0
		.amdhsa_user_sgpr_queue_ptr 0
		.amdhsa_user_sgpr_kernarg_segment_ptr 1
		.amdhsa_user_sgpr_dispatch_id 0
		.amdhsa_user_sgpr_private_segment_size 0
		.amdhsa_wavefront_size32 1
		.amdhsa_uses_dynamic_stack 0
		.amdhsa_enable_private_segment 0
		.amdhsa_system_sgpr_workgroup_id_x 1
		.amdhsa_system_sgpr_workgroup_id_y 0
		.amdhsa_system_sgpr_workgroup_id_z 0
		.amdhsa_system_sgpr_workgroup_info 0
		.amdhsa_system_vgpr_workitem_id 0
		.amdhsa_next_free_vgpr 16
		.amdhsa_next_free_sgpr 16
		.amdhsa_reserve_vcc 1
		.amdhsa_float_round_mode_32 0
		.amdhsa_float_round_mode_16_64 0
		.amdhsa_float_denorm_mode_32 3
		.amdhsa_float_denorm_mode_16_64 3
		.amdhsa_dx10_clamp 1
		.amdhsa_ieee_mode 1
		.amdhsa_fp16_overflow 0
		.amdhsa_workgroup_processor_mode 1
		.amdhsa_memory_ordered 1
		.amdhsa_forward_progress 0
		.amdhsa_shared_vgpr_count 0
		.amdhsa_exception_fp_ieee_invalid_op 0
		.amdhsa_exception_fp_denorm_src 0
		.amdhsa_exception_fp_ieee_div_zero 0
		.amdhsa_exception_fp_ieee_overflow 0
		.amdhsa_exception_fp_ieee_underflow 0
		.amdhsa_exception_fp_ieee_inexact 0
		.amdhsa_exception_int_div_zero 0
	.end_amdhsa_kernel
	.section	.text._Z16warp_load_kernelILj256ELj4ELj32ELN6hipcub17WarpLoadAlgorithmE3EiEvPT3_S3_,"axG",@progbits,_Z16warp_load_kernelILj256ELj4ELj32ELN6hipcub17WarpLoadAlgorithmE3EiEvPT3_S3_,comdat
.Lfunc_end3:
	.size	_Z16warp_load_kernelILj256ELj4ELj32ELN6hipcub17WarpLoadAlgorithmE3EiEvPT3_S3_, .Lfunc_end3-_Z16warp_load_kernelILj256ELj4ELj32ELN6hipcub17WarpLoadAlgorithmE3EiEvPT3_S3_
                                        ; -- End function
	.section	.AMDGPU.csdata,"",@progbits
; Kernel info:
; codeLenInByte = 344
; NumSgprs: 18
; NumVgprs: 16
; ScratchSize: 0
; MemoryBound: 0
; FloatMode: 240
; IeeeMode: 1
; LDSByteSize: 4096 bytes/workgroup (compile time only)
; SGPRBlocks: 2
; VGPRBlocks: 1
; NumSGPRsForWavesPerEU: 18
; NumVGPRsForWavesPerEU: 16
; Occupancy: 16
; WaveLimiterHint : 1
; COMPUTE_PGM_RSRC2:SCRATCH_EN: 0
; COMPUTE_PGM_RSRC2:USER_SGPR: 15
; COMPUTE_PGM_RSRC2:TRAP_HANDLER: 0
; COMPUTE_PGM_RSRC2:TGID_X_EN: 1
; COMPUTE_PGM_RSRC2:TGID_Y_EN: 0
; COMPUTE_PGM_RSRC2:TGID_Z_EN: 0
; COMPUTE_PGM_RSRC2:TIDIG_COMP_CNT: 0
	.section	.text._Z16warp_load_kernelILj256ELj8ELj32ELN6hipcub17WarpLoadAlgorithmE0EiEvPT3_S3_,"axG",@progbits,_Z16warp_load_kernelILj256ELj8ELj32ELN6hipcub17WarpLoadAlgorithmE0EiEvPT3_S3_,comdat
	.protected	_Z16warp_load_kernelILj256ELj8ELj32ELN6hipcub17WarpLoadAlgorithmE0EiEvPT3_S3_ ; -- Begin function _Z16warp_load_kernelILj256ELj8ELj32ELN6hipcub17WarpLoadAlgorithmE0EiEvPT3_S3_
	.globl	_Z16warp_load_kernelILj256ELj8ELj32ELN6hipcub17WarpLoadAlgorithmE0EiEvPT3_S3_
	.p2align	8
	.type	_Z16warp_load_kernelILj256ELj8ELj32ELN6hipcub17WarpLoadAlgorithmE0EiEvPT3_S3_,@function
_Z16warp_load_kernelILj256ELj8ELj32ELN6hipcub17WarpLoadAlgorithmE0EiEvPT3_S3_: ; @_Z16warp_load_kernelILj256ELj8ELj32ELN6hipcub17WarpLoadAlgorithmE0EiEvPT3_S3_
; %bb.0:
	s_load_b128 s[0:3], s[0:1], 0x0
	v_dual_mov_b32 v10, 0 :: v_dual_lshlrev_b32 v1, 3, v0
	s_lshl_b32 s4, s15, 11
	v_mbcnt_lo_u32_b32 v3, -1, 0
	s_delay_alu instid0(VALU_DEP_2) | instskip(NEXT) | instid1(VALU_DEP_3)
	v_and_or_b32 v9, 0x700, v1, s4
	v_mov_b32_e32 v12, v10
	s_delay_alu instid0(VALU_DEP_3) | instskip(SKIP_1) | instid1(VALU_DEP_4)
	v_dual_mov_b32 v14, v10 :: v_dual_lshlrev_b32 v3, 5, v3
	v_mov_b32_e32 v16, v10
	v_lshlrev_b64 v[1:2], 2, v[9:10]
	v_or_b32_e32 v9, s4, v0
	s_delay_alu instid0(VALU_DEP_1)
	v_or_b32_e32 v11, 0x400, v9
	v_lshlrev_b64 v[17:18], 2, v[9:10]
	v_or_b32_e32 v13, 0x500, v9
	s_waitcnt lgkmcnt(0)
	v_add_co_u32 v1, vcc_lo, s0, v1
	v_add_co_ci_u32_e32 v2, vcc_lo, s1, v2, vcc_lo
	v_lshlrev_b64 v[11:12], 2, v[11:12]
	s_delay_alu instid0(VALU_DEP_3) | instskip(NEXT) | instid1(VALU_DEP_3)
	v_add_co_u32 v5, vcc_lo, v1, v3
	v_add_co_ci_u32_e32 v6, vcc_lo, 0, v2, vcc_lo
	v_or_b32_e32 v15, 0x600, v9
	v_lshlrev_b64 v[13:14], 2, v[13:14]
	v_add_co_u32 v17, vcc_lo, s2, v17
	s_clause 0x1
	global_load_b128 v[1:4], v[5:6], off
	global_load_b128 v[5:8], v[5:6], off offset:16
	v_or_b32_e32 v9, 0x700, v9
	v_add_co_ci_u32_e32 v18, vcc_lo, s3, v18, vcc_lo
	v_lshlrev_b64 v[15:16], 2, v[15:16]
	v_add_co_u32 v11, vcc_lo, s2, v11
	v_add_co_ci_u32_e32 v12, vcc_lo, s3, v12, vcc_lo
	v_lshlrev_b64 v[9:10], 2, v[9:10]
	v_add_co_u32 v13, vcc_lo, s2, v13
	v_add_co_ci_u32_e32 v14, vcc_lo, s3, v14, vcc_lo
	v_add_co_u32 v15, vcc_lo, s2, v15
	v_add_co_ci_u32_e32 v16, vcc_lo, s3, v16, vcc_lo
	;; [unrolled: 2-line block ×3, first 2 shown]
	s_waitcnt vmcnt(1)
	s_clause 0x3
	global_store_b32 v[17:18], v1, off
	global_store_b32 v[17:18], v2, off offset:1024
	global_store_b32 v[17:18], v3, off offset:2048
	;; [unrolled: 1-line block ×3, first 2 shown]
	s_waitcnt vmcnt(0)
	s_clause 0x3
	global_store_b32 v[11:12], v5, off
	global_store_b32 v[13:14], v6, off
	;; [unrolled: 1-line block ×4, first 2 shown]
	s_nop 0
	s_sendmsg sendmsg(MSG_DEALLOC_VGPRS)
	s_endpgm
	.section	.rodata,"a",@progbits
	.p2align	6, 0x0
	.amdhsa_kernel _Z16warp_load_kernelILj256ELj8ELj32ELN6hipcub17WarpLoadAlgorithmE0EiEvPT3_S3_
		.amdhsa_group_segment_fixed_size 0
		.amdhsa_private_segment_fixed_size 0
		.amdhsa_kernarg_size 16
		.amdhsa_user_sgpr_count 15
		.amdhsa_user_sgpr_dispatch_ptr 0
		.amdhsa_user_sgpr_queue_ptr 0
		.amdhsa_user_sgpr_kernarg_segment_ptr 1
		.amdhsa_user_sgpr_dispatch_id 0
		.amdhsa_user_sgpr_private_segment_size 0
		.amdhsa_wavefront_size32 1
		.amdhsa_uses_dynamic_stack 0
		.amdhsa_enable_private_segment 0
		.amdhsa_system_sgpr_workgroup_id_x 1
		.amdhsa_system_sgpr_workgroup_id_y 0
		.amdhsa_system_sgpr_workgroup_id_z 0
		.amdhsa_system_sgpr_workgroup_info 0
		.amdhsa_system_vgpr_workitem_id 0
		.amdhsa_next_free_vgpr 19
		.amdhsa_next_free_sgpr 16
		.amdhsa_reserve_vcc 1
		.amdhsa_float_round_mode_32 0
		.amdhsa_float_round_mode_16_64 0
		.amdhsa_float_denorm_mode_32 3
		.amdhsa_float_denorm_mode_16_64 3
		.amdhsa_dx10_clamp 1
		.amdhsa_ieee_mode 1
		.amdhsa_fp16_overflow 0
		.amdhsa_workgroup_processor_mode 1
		.amdhsa_memory_ordered 1
		.amdhsa_forward_progress 0
		.amdhsa_shared_vgpr_count 0
		.amdhsa_exception_fp_ieee_invalid_op 0
		.amdhsa_exception_fp_denorm_src 0
		.amdhsa_exception_fp_ieee_div_zero 0
		.amdhsa_exception_fp_ieee_overflow 0
		.amdhsa_exception_fp_ieee_underflow 0
		.amdhsa_exception_fp_ieee_inexact 0
		.amdhsa_exception_int_div_zero 0
	.end_amdhsa_kernel
	.section	.text._Z16warp_load_kernelILj256ELj8ELj32ELN6hipcub17WarpLoadAlgorithmE0EiEvPT3_S3_,"axG",@progbits,_Z16warp_load_kernelILj256ELj8ELj32ELN6hipcub17WarpLoadAlgorithmE0EiEvPT3_S3_,comdat
.Lfunc_end4:
	.size	_Z16warp_load_kernelILj256ELj8ELj32ELN6hipcub17WarpLoadAlgorithmE0EiEvPT3_S3_, .Lfunc_end4-_Z16warp_load_kernelILj256ELj8ELj32ELN6hipcub17WarpLoadAlgorithmE0EiEvPT3_S3_
                                        ; -- End function
	.section	.AMDGPU.csdata,"",@progbits
; Kernel info:
; codeLenInByte = 356
; NumSgprs: 18
; NumVgprs: 19
; ScratchSize: 0
; MemoryBound: 0
; FloatMode: 240
; IeeeMode: 1
; LDSByteSize: 0 bytes/workgroup (compile time only)
; SGPRBlocks: 2
; VGPRBlocks: 2
; NumSGPRsForWavesPerEU: 18
; NumVGPRsForWavesPerEU: 19
; Occupancy: 16
; WaveLimiterHint : 1
; COMPUTE_PGM_RSRC2:SCRATCH_EN: 0
; COMPUTE_PGM_RSRC2:USER_SGPR: 15
; COMPUTE_PGM_RSRC2:TRAP_HANDLER: 0
; COMPUTE_PGM_RSRC2:TGID_X_EN: 1
; COMPUTE_PGM_RSRC2:TGID_Y_EN: 0
; COMPUTE_PGM_RSRC2:TGID_Z_EN: 0
; COMPUTE_PGM_RSRC2:TIDIG_COMP_CNT: 0
	.section	.text._Z16warp_load_kernelILj256ELj8ELj32ELN6hipcub17WarpLoadAlgorithmE1EiEvPT3_S3_,"axG",@progbits,_Z16warp_load_kernelILj256ELj8ELj32ELN6hipcub17WarpLoadAlgorithmE1EiEvPT3_S3_,comdat
	.protected	_Z16warp_load_kernelILj256ELj8ELj32ELN6hipcub17WarpLoadAlgorithmE1EiEvPT3_S3_ ; -- Begin function _Z16warp_load_kernelILj256ELj8ELj32ELN6hipcub17WarpLoadAlgorithmE1EiEvPT3_S3_
	.globl	_Z16warp_load_kernelILj256ELj8ELj32ELN6hipcub17WarpLoadAlgorithmE1EiEvPT3_S3_
	.p2align	8
	.type	_Z16warp_load_kernelILj256ELj8ELj32ELN6hipcub17WarpLoadAlgorithmE1EiEvPT3_S3_,@function
_Z16warp_load_kernelILj256ELj8ELj32ELN6hipcub17WarpLoadAlgorithmE1EiEvPT3_S3_: ; @_Z16warp_load_kernelILj256ELj8ELj32ELN6hipcub17WarpLoadAlgorithmE1EiEvPT3_S3_
; %bb.0:
	s_load_b128 s[0:3], s[0:1], 0x0
	v_dual_mov_b32 v2, 0 :: v_dual_lshlrev_b32 v1, 3, v0
	s_lshl_b32 s4, s15, 11
	v_mbcnt_lo_u32_b32 v5, -1, 0
	s_delay_alu instid0(VALU_DEP_2) | instskip(NEXT) | instid1(VALU_DEP_3)
	v_and_or_b32 v1, 0x700, v1, s4
	v_mov_b32_e32 v6, v2
	v_mov_b32_e32 v8, v2
	s_delay_alu instid0(VALU_DEP_3) | instskip(SKIP_2) | instid1(VALU_DEP_2)
	v_lshlrev_b64 v[3:4], 2, v[1:2]
	v_lshlrev_b32_e32 v1, 2, v5
	s_waitcnt lgkmcnt(0)
	v_add_co_u32 v3, vcc_lo, s0, v3
	s_delay_alu instid0(VALU_DEP_3) | instskip(NEXT) | instid1(VALU_DEP_2)
	v_add_co_ci_u32_e32 v4, vcc_lo, s1, v4, vcc_lo
	v_add_co_u32 v3, vcc_lo, v3, v1
	s_delay_alu instid0(VALU_DEP_2)
	v_add_co_ci_u32_e32 v4, vcc_lo, 0, v4, vcc_lo
	v_or_b32_e32 v1, s4, v0
	s_clause 0x7
	global_load_b32 v11, v[3:4], off
	global_load_b32 v12, v[3:4], off offset:128
	global_load_b32 v13, v[3:4], off offset:256
	;; [unrolled: 1-line block ×7, first 2 shown]
	v_mov_b32_e32 v4, v2
	v_or_b32_e32 v3, 0x400, v1
	v_lshlrev_b64 v[9:10], 2, v[1:2]
	v_or_b32_e32 v5, 0x500, v1
	v_or_b32_e32 v7, 0x600, v1
	;; [unrolled: 1-line block ×3, first 2 shown]
	v_lshlrev_b64 v[3:4], 2, v[3:4]
	s_delay_alu instid0(VALU_DEP_4)
	v_lshlrev_b64 v[5:6], 2, v[5:6]
	v_add_co_u32 v9, vcc_lo, s2, v9
	v_add_co_ci_u32_e32 v10, vcc_lo, s3, v10, vcc_lo
	v_lshlrev_b64 v[7:8], 2, v[7:8]
	v_lshlrev_b64 v[0:1], 2, v[1:2]
	v_add_co_u32 v2, vcc_lo, s2, v3
	v_add_co_ci_u32_e32 v3, vcc_lo, s3, v4, vcc_lo
	v_add_co_u32 v4, vcc_lo, s2, v5
	v_add_co_ci_u32_e32 v5, vcc_lo, s3, v6, vcc_lo
	;; [unrolled: 2-line block ×4, first 2 shown]
	s_waitcnt vmcnt(7)
	global_store_b32 v[9:10], v11, off
	s_waitcnt vmcnt(6)
	global_store_b32 v[9:10], v12, off offset:1024
	s_waitcnt vmcnt(5)
	global_store_b32 v[9:10], v13, off offset:2048
	;; [unrolled: 2-line block ×3, first 2 shown]
	s_waitcnt vmcnt(3)
	global_store_b32 v[2:3], v15, off
	s_waitcnt vmcnt(2)
	global_store_b32 v[4:5], v16, off
	;; [unrolled: 2-line block ×4, first 2 shown]
	s_nop 0
	s_sendmsg sendmsg(MSG_DEALLOC_VGPRS)
	s_endpgm
	.section	.rodata,"a",@progbits
	.p2align	6, 0x0
	.amdhsa_kernel _Z16warp_load_kernelILj256ELj8ELj32ELN6hipcub17WarpLoadAlgorithmE1EiEvPT3_S3_
		.amdhsa_group_segment_fixed_size 0
		.amdhsa_private_segment_fixed_size 0
		.amdhsa_kernarg_size 16
		.amdhsa_user_sgpr_count 15
		.amdhsa_user_sgpr_dispatch_ptr 0
		.amdhsa_user_sgpr_queue_ptr 0
		.amdhsa_user_sgpr_kernarg_segment_ptr 1
		.amdhsa_user_sgpr_dispatch_id 0
		.amdhsa_user_sgpr_private_segment_size 0
		.amdhsa_wavefront_size32 1
		.amdhsa_uses_dynamic_stack 0
		.amdhsa_enable_private_segment 0
		.amdhsa_system_sgpr_workgroup_id_x 1
		.amdhsa_system_sgpr_workgroup_id_y 0
		.amdhsa_system_sgpr_workgroup_id_z 0
		.amdhsa_system_sgpr_workgroup_info 0
		.amdhsa_system_vgpr_workitem_id 0
		.amdhsa_next_free_vgpr 19
		.amdhsa_next_free_sgpr 16
		.amdhsa_reserve_vcc 1
		.amdhsa_float_round_mode_32 0
		.amdhsa_float_round_mode_16_64 0
		.amdhsa_float_denorm_mode_32 3
		.amdhsa_float_denorm_mode_16_64 3
		.amdhsa_dx10_clamp 1
		.amdhsa_ieee_mode 1
		.amdhsa_fp16_overflow 0
		.amdhsa_workgroup_processor_mode 1
		.amdhsa_memory_ordered 1
		.amdhsa_forward_progress 0
		.amdhsa_shared_vgpr_count 0
		.amdhsa_exception_fp_ieee_invalid_op 0
		.amdhsa_exception_fp_denorm_src 0
		.amdhsa_exception_fp_ieee_div_zero 0
		.amdhsa_exception_fp_ieee_overflow 0
		.amdhsa_exception_fp_ieee_underflow 0
		.amdhsa_exception_fp_ieee_inexact 0
		.amdhsa_exception_int_div_zero 0
	.end_amdhsa_kernel
	.section	.text._Z16warp_load_kernelILj256ELj8ELj32ELN6hipcub17WarpLoadAlgorithmE1EiEvPT3_S3_,"axG",@progbits,_Z16warp_load_kernelILj256ELj8ELj32ELN6hipcub17WarpLoadAlgorithmE1EiEvPT3_S3_,comdat
.Lfunc_end5:
	.size	_Z16warp_load_kernelILj256ELj8ELj32ELN6hipcub17WarpLoadAlgorithmE1EiEvPT3_S3_, .Lfunc_end5-_Z16warp_load_kernelILj256ELj8ELj32ELN6hipcub17WarpLoadAlgorithmE1EiEvPT3_S3_
                                        ; -- End function
	.section	.AMDGPU.csdata,"",@progbits
; Kernel info:
; codeLenInByte = 424
; NumSgprs: 18
; NumVgprs: 19
; ScratchSize: 0
; MemoryBound: 0
; FloatMode: 240
; IeeeMode: 1
; LDSByteSize: 0 bytes/workgroup (compile time only)
; SGPRBlocks: 2
; VGPRBlocks: 2
; NumSGPRsForWavesPerEU: 18
; NumVGPRsForWavesPerEU: 19
; Occupancy: 16
; WaveLimiterHint : 1
; COMPUTE_PGM_RSRC2:SCRATCH_EN: 0
; COMPUTE_PGM_RSRC2:USER_SGPR: 15
; COMPUTE_PGM_RSRC2:TRAP_HANDLER: 0
; COMPUTE_PGM_RSRC2:TGID_X_EN: 1
; COMPUTE_PGM_RSRC2:TGID_Y_EN: 0
; COMPUTE_PGM_RSRC2:TGID_Z_EN: 0
; COMPUTE_PGM_RSRC2:TIDIG_COMP_CNT: 0
	.section	.text._Z16warp_load_kernelILj256ELj8ELj32ELN6hipcub17WarpLoadAlgorithmE2EiEvPT3_S3_,"axG",@progbits,_Z16warp_load_kernelILj256ELj8ELj32ELN6hipcub17WarpLoadAlgorithmE2EiEvPT3_S3_,comdat
	.protected	_Z16warp_load_kernelILj256ELj8ELj32ELN6hipcub17WarpLoadAlgorithmE2EiEvPT3_S3_ ; -- Begin function _Z16warp_load_kernelILj256ELj8ELj32ELN6hipcub17WarpLoadAlgorithmE2EiEvPT3_S3_
	.globl	_Z16warp_load_kernelILj256ELj8ELj32ELN6hipcub17WarpLoadAlgorithmE2EiEvPT3_S3_
	.p2align	8
	.type	_Z16warp_load_kernelILj256ELj8ELj32ELN6hipcub17WarpLoadAlgorithmE2EiEvPT3_S3_,@function
_Z16warp_load_kernelILj256ELj8ELj32ELN6hipcub17WarpLoadAlgorithmE2EiEvPT3_S3_: ; @_Z16warp_load_kernelILj256ELj8ELj32ELN6hipcub17WarpLoadAlgorithmE2EiEvPT3_S3_
; %bb.0:
	s_load_b128 s[0:3], s[0:1], 0x0
	v_dual_mov_b32 v10, 0 :: v_dual_lshlrev_b32 v1, 3, v0
	s_lshl_b32 s4, s15, 11
	v_mbcnt_lo_u32_b32 v3, -1, 0
	s_delay_alu instid0(VALU_DEP_2) | instskip(NEXT) | instid1(VALU_DEP_3)
	v_and_or_b32 v9, 0x700, v1, s4
	v_mov_b32_e32 v12, v10
	s_delay_alu instid0(VALU_DEP_3) | instskip(SKIP_1) | instid1(VALU_DEP_4)
	v_dual_mov_b32 v14, v10 :: v_dual_lshlrev_b32 v3, 5, v3
	v_mov_b32_e32 v16, v10
	v_lshlrev_b64 v[1:2], 2, v[9:10]
	v_or_b32_e32 v9, s4, v0
	s_delay_alu instid0(VALU_DEP_1)
	v_or_b32_e32 v11, 0x400, v9
	v_lshlrev_b64 v[17:18], 2, v[9:10]
	v_or_b32_e32 v13, 0x500, v9
	s_waitcnt lgkmcnt(0)
	v_add_co_u32 v1, vcc_lo, s0, v1
	v_add_co_ci_u32_e32 v2, vcc_lo, s1, v2, vcc_lo
	v_lshlrev_b64 v[11:12], 2, v[11:12]
	s_delay_alu instid0(VALU_DEP_3) | instskip(NEXT) | instid1(VALU_DEP_3)
	v_add_co_u32 v5, vcc_lo, v1, v3
	v_add_co_ci_u32_e32 v6, vcc_lo, 0, v2, vcc_lo
	v_or_b32_e32 v15, 0x600, v9
	v_lshlrev_b64 v[13:14], 2, v[13:14]
	v_add_co_u32 v17, vcc_lo, s2, v17
	s_clause 0x1
	global_load_b128 v[1:4], v[5:6], off
	global_load_b128 v[5:8], v[5:6], off offset:16
	v_or_b32_e32 v9, 0x700, v9
	v_add_co_ci_u32_e32 v18, vcc_lo, s3, v18, vcc_lo
	v_lshlrev_b64 v[15:16], 2, v[15:16]
	v_add_co_u32 v11, vcc_lo, s2, v11
	v_add_co_ci_u32_e32 v12, vcc_lo, s3, v12, vcc_lo
	v_lshlrev_b64 v[9:10], 2, v[9:10]
	v_add_co_u32 v13, vcc_lo, s2, v13
	v_add_co_ci_u32_e32 v14, vcc_lo, s3, v14, vcc_lo
	v_add_co_u32 v15, vcc_lo, s2, v15
	v_add_co_ci_u32_e32 v16, vcc_lo, s3, v16, vcc_lo
	;; [unrolled: 2-line block ×3, first 2 shown]
	s_waitcnt vmcnt(1)
	s_clause 0x3
	global_store_b32 v[17:18], v1, off
	global_store_b32 v[17:18], v2, off offset:1024
	global_store_b32 v[17:18], v3, off offset:2048
	;; [unrolled: 1-line block ×3, first 2 shown]
	s_waitcnt vmcnt(0)
	s_clause 0x3
	global_store_b32 v[11:12], v5, off
	global_store_b32 v[13:14], v6, off
	;; [unrolled: 1-line block ×4, first 2 shown]
	s_nop 0
	s_sendmsg sendmsg(MSG_DEALLOC_VGPRS)
	s_endpgm
	.section	.rodata,"a",@progbits
	.p2align	6, 0x0
	.amdhsa_kernel _Z16warp_load_kernelILj256ELj8ELj32ELN6hipcub17WarpLoadAlgorithmE2EiEvPT3_S3_
		.amdhsa_group_segment_fixed_size 0
		.amdhsa_private_segment_fixed_size 0
		.amdhsa_kernarg_size 16
		.amdhsa_user_sgpr_count 15
		.amdhsa_user_sgpr_dispatch_ptr 0
		.amdhsa_user_sgpr_queue_ptr 0
		.amdhsa_user_sgpr_kernarg_segment_ptr 1
		.amdhsa_user_sgpr_dispatch_id 0
		.amdhsa_user_sgpr_private_segment_size 0
		.amdhsa_wavefront_size32 1
		.amdhsa_uses_dynamic_stack 0
		.amdhsa_enable_private_segment 0
		.amdhsa_system_sgpr_workgroup_id_x 1
		.amdhsa_system_sgpr_workgroup_id_y 0
		.amdhsa_system_sgpr_workgroup_id_z 0
		.amdhsa_system_sgpr_workgroup_info 0
		.amdhsa_system_vgpr_workitem_id 0
		.amdhsa_next_free_vgpr 19
		.amdhsa_next_free_sgpr 16
		.amdhsa_reserve_vcc 1
		.amdhsa_float_round_mode_32 0
		.amdhsa_float_round_mode_16_64 0
		.amdhsa_float_denorm_mode_32 3
		.amdhsa_float_denorm_mode_16_64 3
		.amdhsa_dx10_clamp 1
		.amdhsa_ieee_mode 1
		.amdhsa_fp16_overflow 0
		.amdhsa_workgroup_processor_mode 1
		.amdhsa_memory_ordered 1
		.amdhsa_forward_progress 0
		.amdhsa_shared_vgpr_count 0
		.amdhsa_exception_fp_ieee_invalid_op 0
		.amdhsa_exception_fp_denorm_src 0
		.amdhsa_exception_fp_ieee_div_zero 0
		.amdhsa_exception_fp_ieee_overflow 0
		.amdhsa_exception_fp_ieee_underflow 0
		.amdhsa_exception_fp_ieee_inexact 0
		.amdhsa_exception_int_div_zero 0
	.end_amdhsa_kernel
	.section	.text._Z16warp_load_kernelILj256ELj8ELj32ELN6hipcub17WarpLoadAlgorithmE2EiEvPT3_S3_,"axG",@progbits,_Z16warp_load_kernelILj256ELj8ELj32ELN6hipcub17WarpLoadAlgorithmE2EiEvPT3_S3_,comdat
.Lfunc_end6:
	.size	_Z16warp_load_kernelILj256ELj8ELj32ELN6hipcub17WarpLoadAlgorithmE2EiEvPT3_S3_, .Lfunc_end6-_Z16warp_load_kernelILj256ELj8ELj32ELN6hipcub17WarpLoadAlgorithmE2EiEvPT3_S3_
                                        ; -- End function
	.section	.AMDGPU.csdata,"",@progbits
; Kernel info:
; codeLenInByte = 356
; NumSgprs: 18
; NumVgprs: 19
; ScratchSize: 0
; MemoryBound: 0
; FloatMode: 240
; IeeeMode: 1
; LDSByteSize: 0 bytes/workgroup (compile time only)
; SGPRBlocks: 2
; VGPRBlocks: 2
; NumSGPRsForWavesPerEU: 18
; NumVGPRsForWavesPerEU: 19
; Occupancy: 16
; WaveLimiterHint : 1
; COMPUTE_PGM_RSRC2:SCRATCH_EN: 0
; COMPUTE_PGM_RSRC2:USER_SGPR: 15
; COMPUTE_PGM_RSRC2:TRAP_HANDLER: 0
; COMPUTE_PGM_RSRC2:TGID_X_EN: 1
; COMPUTE_PGM_RSRC2:TGID_Y_EN: 0
; COMPUTE_PGM_RSRC2:TGID_Z_EN: 0
; COMPUTE_PGM_RSRC2:TIDIG_COMP_CNT: 0
	.section	.text._Z16warp_load_kernelILj256ELj8ELj32ELN6hipcub17WarpLoadAlgorithmE3EiEvPT3_S3_,"axG",@progbits,_Z16warp_load_kernelILj256ELj8ELj32ELN6hipcub17WarpLoadAlgorithmE3EiEvPT3_S3_,comdat
	.protected	_Z16warp_load_kernelILj256ELj8ELj32ELN6hipcub17WarpLoadAlgorithmE3EiEvPT3_S3_ ; -- Begin function _Z16warp_load_kernelILj256ELj8ELj32ELN6hipcub17WarpLoadAlgorithmE3EiEvPT3_S3_
	.globl	_Z16warp_load_kernelILj256ELj8ELj32ELN6hipcub17WarpLoadAlgorithmE3EiEvPT3_S3_
	.p2align	8
	.type	_Z16warp_load_kernelILj256ELj8ELj32ELN6hipcub17WarpLoadAlgorithmE3EiEvPT3_S3_,@function
_Z16warp_load_kernelILj256ELj8ELj32ELN6hipcub17WarpLoadAlgorithmE3EiEvPT3_S3_: ; @_Z16warp_load_kernelILj256ELj8ELj32ELN6hipcub17WarpLoadAlgorithmE3EiEvPT3_S3_
; %bb.0:
	s_load_b128 s[0:3], s[0:1], 0x0
	v_lshrrev_b32_e32 v5, 5, v0
	s_lshl_b32 s4, s15, 11
	v_mbcnt_lo_u32_b32 v11, -1, 0
	v_mov_b32_e32 v2, 0
	s_delay_alu instid0(VALU_DEP_3) | instskip(SKIP_1) | instid1(VALU_DEP_3)
	v_lshl_or_b32 v1, v5, 8, s4
	v_lshlrev_b32_e32 v12, 10, v5
	v_dual_mov_b32 v6, v2 :: v_dual_lshlrev_b32 v7, 2, v11
	v_mov_b32_e32 v8, v2
	s_delay_alu instid0(VALU_DEP_4) | instskip(NEXT) | instid1(VALU_DEP_4)
	v_lshlrev_b64 v[3:4], 2, v[1:2]
	v_lshl_or_b32 v27, v11, 5, v12
	s_waitcnt lgkmcnt(0)
	s_delay_alu instid0(VALU_DEP_2) | instskip(NEXT) | instid1(VALU_DEP_3)
	v_add_co_u32 v1, vcc_lo, s0, v3
	v_add_co_ci_u32_e32 v4, vcc_lo, s1, v4, vcc_lo
	s_delay_alu instid0(VALU_DEP_2) | instskip(NEXT) | instid1(VALU_DEP_2)
	v_add_co_u32 v3, vcc_lo, v1, v7
	v_add_co_ci_u32_e32 v4, vcc_lo, 0, v4, vcc_lo
	v_or_b32_e32 v1, s4, v0
	v_or_b32_e32 v0, v12, v7
	s_clause 0x7
	global_load_b32 v19, v[3:4], off
	global_load_b32 v20, v[3:4], off offset:128
	global_load_b32 v21, v[3:4], off offset:256
	;; [unrolled: 1-line block ×7, first 2 shown]
	v_mov_b32_e32 v4, v2
	v_lshlrev_b64 v[9:10], 2, v[1:2]
	v_or_b32_e32 v3, 0x400, v1
	v_or_b32_e32 v5, 0x500, v1
	;; [unrolled: 1-line block ×4, first 2 shown]
	s_waitcnt vmcnt(6)
	ds_store_2addr_b32 v0, v19, v20 offset1:32
	s_waitcnt vmcnt(4)
	ds_store_2addr_b32 v0, v21, v22 offset0:64 offset1:96
	s_waitcnt vmcnt(2)
	ds_store_2addr_b32 v0, v23, v24 offset0:128 offset1:160
	;; [unrolled: 2-line block ×3, first 2 shown]
	v_lshlrev_b64 v[11:12], 2, v[3:4]
	v_lshlrev_b64 v[17:18], 2, v[1:2]
	; wave barrier
	ds_load_b128 v[0:3], v27
	v_lshlrev_b64 v[13:14], 2, v[5:6]
	v_lshlrev_b64 v[15:16], 2, v[7:8]
	ds_load_b128 v[4:7], v27 offset:16
	v_add_co_u32 v8, vcc_lo, s2, v9
	v_add_co_ci_u32_e32 v9, vcc_lo, s3, v10, vcc_lo
	v_add_co_u32 v10, vcc_lo, s2, v11
	v_add_co_ci_u32_e32 v11, vcc_lo, s3, v12, vcc_lo
	;; [unrolled: 2-line block ×5, first 2 shown]
	s_waitcnt lgkmcnt(1)
	s_clause 0x3
	global_store_b32 v[8:9], v0, off
	global_store_b32 v[8:9], v1, off offset:1024
	global_store_b32 v[8:9], v2, off offset:2048
	global_store_b32 v[8:9], v3, off offset:3072
	s_waitcnt lgkmcnt(0)
	s_clause 0x3
	global_store_b32 v[10:11], v4, off
	global_store_b32 v[12:13], v5, off
	;; [unrolled: 1-line block ×4, first 2 shown]
	s_nop 0
	s_sendmsg sendmsg(MSG_DEALLOC_VGPRS)
	s_endpgm
	.section	.rodata,"a",@progbits
	.p2align	6, 0x0
	.amdhsa_kernel _Z16warp_load_kernelILj256ELj8ELj32ELN6hipcub17WarpLoadAlgorithmE3EiEvPT3_S3_
		.amdhsa_group_segment_fixed_size 8192
		.amdhsa_private_segment_fixed_size 0
		.amdhsa_kernarg_size 16
		.amdhsa_user_sgpr_count 15
		.amdhsa_user_sgpr_dispatch_ptr 0
		.amdhsa_user_sgpr_queue_ptr 0
		.amdhsa_user_sgpr_kernarg_segment_ptr 1
		.amdhsa_user_sgpr_dispatch_id 0
		.amdhsa_user_sgpr_private_segment_size 0
		.amdhsa_wavefront_size32 1
		.amdhsa_uses_dynamic_stack 0
		.amdhsa_enable_private_segment 0
		.amdhsa_system_sgpr_workgroup_id_x 1
		.amdhsa_system_sgpr_workgroup_id_y 0
		.amdhsa_system_sgpr_workgroup_id_z 0
		.amdhsa_system_sgpr_workgroup_info 0
		.amdhsa_system_vgpr_workitem_id 0
		.amdhsa_next_free_vgpr 28
		.amdhsa_next_free_sgpr 16
		.amdhsa_reserve_vcc 1
		.amdhsa_float_round_mode_32 0
		.amdhsa_float_round_mode_16_64 0
		.amdhsa_float_denorm_mode_32 3
		.amdhsa_float_denorm_mode_16_64 3
		.amdhsa_dx10_clamp 1
		.amdhsa_ieee_mode 1
		.amdhsa_fp16_overflow 0
		.amdhsa_workgroup_processor_mode 1
		.amdhsa_memory_ordered 1
		.amdhsa_forward_progress 0
		.amdhsa_shared_vgpr_count 0
		.amdhsa_exception_fp_ieee_invalid_op 0
		.amdhsa_exception_fp_denorm_src 0
		.amdhsa_exception_fp_ieee_div_zero 0
		.amdhsa_exception_fp_ieee_overflow 0
		.amdhsa_exception_fp_ieee_underflow 0
		.amdhsa_exception_fp_ieee_inexact 0
		.amdhsa_exception_int_div_zero 0
	.end_amdhsa_kernel
	.section	.text._Z16warp_load_kernelILj256ELj8ELj32ELN6hipcub17WarpLoadAlgorithmE3EiEvPT3_S3_,"axG",@progbits,_Z16warp_load_kernelILj256ELj8ELj32ELN6hipcub17WarpLoadAlgorithmE3EiEvPT3_S3_,comdat
.Lfunc_end7:
	.size	_Z16warp_load_kernelILj256ELj8ELj32ELN6hipcub17WarpLoadAlgorithmE3EiEvPT3_S3_, .Lfunc_end7-_Z16warp_load_kernelILj256ELj8ELj32ELN6hipcub17WarpLoadAlgorithmE3EiEvPT3_S3_
                                        ; -- End function
	.section	.AMDGPU.csdata,"",@progbits
; Kernel info:
; codeLenInByte = 480
; NumSgprs: 18
; NumVgprs: 28
; ScratchSize: 0
; MemoryBound: 0
; FloatMode: 240
; IeeeMode: 1
; LDSByteSize: 8192 bytes/workgroup (compile time only)
; SGPRBlocks: 2
; VGPRBlocks: 3
; NumSGPRsForWavesPerEU: 18
; NumVGPRsForWavesPerEU: 28
; Occupancy: 16
; WaveLimiterHint : 1
; COMPUTE_PGM_RSRC2:SCRATCH_EN: 0
; COMPUTE_PGM_RSRC2:USER_SGPR: 15
; COMPUTE_PGM_RSRC2:TRAP_HANDLER: 0
; COMPUTE_PGM_RSRC2:TGID_X_EN: 1
; COMPUTE_PGM_RSRC2:TGID_Y_EN: 0
; COMPUTE_PGM_RSRC2:TGID_Z_EN: 0
; COMPUTE_PGM_RSRC2:TIDIG_COMP_CNT: 0
	.section	.text._Z16warp_load_kernelILj256ELj16ELj32ELN6hipcub17WarpLoadAlgorithmE0EiEvPT3_S3_,"axG",@progbits,_Z16warp_load_kernelILj256ELj16ELj32ELN6hipcub17WarpLoadAlgorithmE0EiEvPT3_S3_,comdat
	.protected	_Z16warp_load_kernelILj256ELj16ELj32ELN6hipcub17WarpLoadAlgorithmE0EiEvPT3_S3_ ; -- Begin function _Z16warp_load_kernelILj256ELj16ELj32ELN6hipcub17WarpLoadAlgorithmE0EiEvPT3_S3_
	.globl	_Z16warp_load_kernelILj256ELj16ELj32ELN6hipcub17WarpLoadAlgorithmE0EiEvPT3_S3_
	.p2align	8
	.type	_Z16warp_load_kernelILj256ELj16ELj32ELN6hipcub17WarpLoadAlgorithmE0EiEvPT3_S3_,@function
_Z16warp_load_kernelILj256ELj16ELj32ELN6hipcub17WarpLoadAlgorithmE0EiEvPT3_S3_: ; @_Z16warp_load_kernelILj256ELj16ELj32ELN6hipcub17WarpLoadAlgorithmE0EiEvPT3_S3_
; %bb.0:
	s_load_b128 s[0:3], s[0:1], 0x0
	v_dual_mov_b32 v18, 0 :: v_dual_lshlrev_b32 v1, 4, v0
	s_lshl_b32 s4, s15, 12
	v_mbcnt_lo_u32_b32 v3, -1, 0
	s_delay_alu instid0(VALU_DEP_2) | instskip(NEXT) | instid1(VALU_DEP_3)
	v_and_or_b32 v17, 0xe00, v1, s4
	v_mov_b32_e32 v20, v18
	s_delay_alu instid0(VALU_DEP_3) | instskip(SKIP_1) | instid1(VALU_DEP_4)
	v_dual_mov_b32 v22, v18 :: v_dual_lshlrev_b32 v3, 6, v3
	v_mov_b32_e32 v24, v18
	v_lshlrev_b64 v[1:2], 2, v[17:18]
	v_or_b32_e32 v17, s4, v0
	v_mov_b32_e32 v26, v18
	v_mov_b32_e32 v28, v18
	;; [unrolled: 1-line block ×4, first 2 shown]
	v_or_b32_e32 v19, 0x400, v17
	v_lshlrev_b64 v[41:42], 2, v[17:18]
	v_or_b32_e32 v21, 0x500, v17
	s_waitcnt lgkmcnt(0)
	v_add_co_u32 v1, vcc_lo, s0, v1
	v_add_co_ci_u32_e32 v2, vcc_lo, s1, v2, vcc_lo
	v_lshlrev_b64 v[19:20], 2, v[19:20]
	s_delay_alu instid0(VALU_DEP_3) | instskip(NEXT) | instid1(VALU_DEP_3)
	v_add_co_u32 v13, vcc_lo, v1, v3
	v_add_co_ci_u32_e32 v14, vcc_lo, 0, v2, vcc_lo
	v_or_b32_e32 v23, 0x600, v17
	v_lshlrev_b64 v[21:22], 2, v[21:22]
	v_add_co_u32 v41, vcc_lo, s2, v41
	s_clause 0x3
	global_load_b128 v[1:4], v[13:14], off
	global_load_b128 v[5:8], v[13:14], off offset:16
	global_load_b128 v[9:12], v[13:14], off offset:32
	;; [unrolled: 1-line block ×3, first 2 shown]
	v_or_b32_e32 v25, 0x700, v17
	v_add_co_ci_u32_e32 v42, vcc_lo, s3, v42, vcc_lo
	v_lshlrev_b64 v[23:24], 2, v[23:24]
	v_add_co_u32 v19, vcc_lo, s2, v19
	v_or_b32_e32 v27, 0x800, v17
	v_add_co_ci_u32_e32 v20, vcc_lo, s3, v20, vcc_lo
	v_lshlrev_b64 v[25:26], 2, v[25:26]
	v_add_co_u32 v21, vcc_lo, s2, v21
	;; [unrolled: 4-line block ×4, first 2 shown]
	v_mov_b32_e32 v34, v18
	v_or_b32_e32 v33, 0xb00, v17
	v_add_co_ci_u32_e32 v26, vcc_lo, s3, v26, vcc_lo
	v_lshlrev_b64 v[31:32], 2, v[31:32]
	v_add_co_u32 v27, vcc_lo, s2, v27
	v_mov_b32_e32 v36, v18
	v_or_b32_e32 v35, 0xc00, v17
	v_add_co_ci_u32_e32 v28, vcc_lo, s3, v28, vcc_lo
	v_lshlrev_b64 v[33:34], 2, v[33:34]
	v_add_co_u32 v29, vcc_lo, s2, v29
	;; [unrolled: 5-line block ×4, first 2 shown]
	v_or_b32_e32 v17, 0xf00, v17
	v_add_co_ci_u32_e32 v34, vcc_lo, s3, v34, vcc_lo
	v_lshlrev_b64 v[39:40], 2, v[39:40]
	v_add_co_u32 v35, vcc_lo, s2, v35
	v_add_co_ci_u32_e32 v36, vcc_lo, s3, v36, vcc_lo
	v_lshlrev_b64 v[17:18], 2, v[17:18]
	v_add_co_u32 v37, vcc_lo, s2, v37
	v_add_co_ci_u32_e32 v38, vcc_lo, s3, v38, vcc_lo
	v_add_co_u32 v39, vcc_lo, s2, v39
	v_add_co_ci_u32_e32 v40, vcc_lo, s3, v40, vcc_lo
	;; [unrolled: 2-line block ×3, first 2 shown]
	s_waitcnt vmcnt(3)
	s_clause 0x3
	global_store_b32 v[41:42], v1, off
	global_store_b32 v[41:42], v2, off offset:1024
	global_store_b32 v[41:42], v3, off offset:2048
	global_store_b32 v[41:42], v4, off offset:3072
	s_waitcnt vmcnt(2)
	s_clause 0x3
	global_store_b32 v[19:20], v5, off
	global_store_b32 v[21:22], v6, off
	global_store_b32 v[23:24], v7, off
	global_store_b32 v[25:26], v8, off
	s_waitcnt vmcnt(1)
	s_clause 0x3
	global_store_b32 v[27:28], v9, off
	global_store_b32 v[29:30], v10, off
	global_store_b32 v[31:32], v11, off
	global_store_b32 v[33:34], v12, off
	;; [unrolled: 6-line block ×3, first 2 shown]
	s_nop 0
	s_sendmsg sendmsg(MSG_DEALLOC_VGPRS)
	s_endpgm
	.section	.rodata,"a",@progbits
	.p2align	6, 0x0
	.amdhsa_kernel _Z16warp_load_kernelILj256ELj16ELj32ELN6hipcub17WarpLoadAlgorithmE0EiEvPT3_S3_
		.amdhsa_group_segment_fixed_size 0
		.amdhsa_private_segment_fixed_size 0
		.amdhsa_kernarg_size 16
		.amdhsa_user_sgpr_count 15
		.amdhsa_user_sgpr_dispatch_ptr 0
		.amdhsa_user_sgpr_queue_ptr 0
		.amdhsa_user_sgpr_kernarg_segment_ptr 1
		.amdhsa_user_sgpr_dispatch_id 0
		.amdhsa_user_sgpr_private_segment_size 0
		.amdhsa_wavefront_size32 1
		.amdhsa_uses_dynamic_stack 0
		.amdhsa_enable_private_segment 0
		.amdhsa_system_sgpr_workgroup_id_x 1
		.amdhsa_system_sgpr_workgroup_id_y 0
		.amdhsa_system_sgpr_workgroup_id_z 0
		.amdhsa_system_sgpr_workgroup_info 0
		.amdhsa_system_vgpr_workitem_id 0
		.amdhsa_next_free_vgpr 43
		.amdhsa_next_free_sgpr 16
		.amdhsa_reserve_vcc 1
		.amdhsa_float_round_mode_32 0
		.amdhsa_float_round_mode_16_64 0
		.amdhsa_float_denorm_mode_32 3
		.amdhsa_float_denorm_mode_16_64 3
		.amdhsa_dx10_clamp 1
		.amdhsa_ieee_mode 1
		.amdhsa_fp16_overflow 0
		.amdhsa_workgroup_processor_mode 1
		.amdhsa_memory_ordered 1
		.amdhsa_forward_progress 0
		.amdhsa_shared_vgpr_count 0
		.amdhsa_exception_fp_ieee_invalid_op 0
		.amdhsa_exception_fp_denorm_src 0
		.amdhsa_exception_fp_ieee_div_zero 0
		.amdhsa_exception_fp_ieee_overflow 0
		.amdhsa_exception_fp_ieee_underflow 0
		.amdhsa_exception_fp_ieee_inexact 0
		.amdhsa_exception_int_div_zero 0
	.end_amdhsa_kernel
	.section	.text._Z16warp_load_kernelILj256ELj16ELj32ELN6hipcub17WarpLoadAlgorithmE0EiEvPT3_S3_,"axG",@progbits,_Z16warp_load_kernelILj256ELj16ELj32ELN6hipcub17WarpLoadAlgorithmE0EiEvPT3_S3_,comdat
.Lfunc_end8:
	.size	_Z16warp_load_kernelILj256ELj16ELj32ELN6hipcub17WarpLoadAlgorithmE0EiEvPT3_S3_, .Lfunc_end8-_Z16warp_load_kernelILj256ELj16ELj32ELN6hipcub17WarpLoadAlgorithmE0EiEvPT3_S3_
                                        ; -- End function
	.section	.AMDGPU.csdata,"",@progbits
; Kernel info:
; codeLenInByte = 704
; NumSgprs: 18
; NumVgprs: 43
; ScratchSize: 0
; MemoryBound: 0
; FloatMode: 240
; IeeeMode: 1
; LDSByteSize: 0 bytes/workgroup (compile time only)
; SGPRBlocks: 2
; VGPRBlocks: 5
; NumSGPRsForWavesPerEU: 18
; NumVGPRsForWavesPerEU: 43
; Occupancy: 16
; WaveLimiterHint : 1
; COMPUTE_PGM_RSRC2:SCRATCH_EN: 0
; COMPUTE_PGM_RSRC2:USER_SGPR: 15
; COMPUTE_PGM_RSRC2:TRAP_HANDLER: 0
; COMPUTE_PGM_RSRC2:TGID_X_EN: 1
; COMPUTE_PGM_RSRC2:TGID_Y_EN: 0
; COMPUTE_PGM_RSRC2:TGID_Z_EN: 0
; COMPUTE_PGM_RSRC2:TIDIG_COMP_CNT: 0
	.section	.text._Z16warp_load_kernelILj256ELj16ELj32ELN6hipcub17WarpLoadAlgorithmE1EiEvPT3_S3_,"axG",@progbits,_Z16warp_load_kernelILj256ELj16ELj32ELN6hipcub17WarpLoadAlgorithmE1EiEvPT3_S3_,comdat
	.protected	_Z16warp_load_kernelILj256ELj16ELj32ELN6hipcub17WarpLoadAlgorithmE1EiEvPT3_S3_ ; -- Begin function _Z16warp_load_kernelILj256ELj16ELj32ELN6hipcub17WarpLoadAlgorithmE1EiEvPT3_S3_
	.globl	_Z16warp_load_kernelILj256ELj16ELj32ELN6hipcub17WarpLoadAlgorithmE1EiEvPT3_S3_
	.p2align	8
	.type	_Z16warp_load_kernelILj256ELj16ELj32ELN6hipcub17WarpLoadAlgorithmE1EiEvPT3_S3_,@function
_Z16warp_load_kernelILj256ELj16ELj32ELN6hipcub17WarpLoadAlgorithmE1EiEvPT3_S3_: ; @_Z16warp_load_kernelILj256ELj16ELj32ELN6hipcub17WarpLoadAlgorithmE1EiEvPT3_S3_
; %bb.0:
	s_load_b128 s[0:3], s[0:1], 0x0
	v_dual_mov_b32 v2, 0 :: v_dual_lshlrev_b32 v1, 4, v0
	s_lshl_b32 s4, s15, 12
	v_mbcnt_lo_u32_b32 v5, -1, 0
	s_delay_alu instid0(VALU_DEP_2) | instskip(NEXT) | instid1(VALU_DEP_3)
	v_and_or_b32 v1, 0xe00, v1, s4
	v_mov_b32_e32 v6, v2
	v_mov_b32_e32 v8, v2
	;; [unrolled: 1-line block ×4, first 2 shown]
	v_lshlrev_b64 v[3:4], 2, v[1:2]
	v_dual_mov_b32 v14, v2 :: v_dual_lshlrev_b32 v1, 2, v5
	v_mov_b32_e32 v16, v2
	v_mov_b32_e32 v18, v2
	;; [unrolled: 1-line block ×5, first 2 shown]
	s_waitcnt lgkmcnt(0)
	v_add_co_u32 v3, vcc_lo, s0, v3
	v_add_co_ci_u32_e32 v4, vcc_lo, s1, v4, vcc_lo
	s_delay_alu instid0(VALU_DEP_2) | instskip(NEXT) | instid1(VALU_DEP_2)
	v_add_co_u32 v3, vcc_lo, v3, v1
	v_add_co_ci_u32_e32 v4, vcc_lo, 0, v4, vcc_lo
	v_or_b32_e32 v1, s4, v0
	s_clause 0xf
	global_load_b32 v27, v[3:4], off
	global_load_b32 v28, v[3:4], off offset:128
	global_load_b32 v29, v[3:4], off offset:256
	;; [unrolled: 1-line block ×15, first 2 shown]
	v_mov_b32_e32 v4, v2
	v_or_b32_e32 v3, 0x400, v1
	v_lshlrev_b64 v[25:26], 2, v[1:2]
	v_or_b32_e32 v5, 0x500, v1
	v_or_b32_e32 v7, 0x600, v1
	;; [unrolled: 1-line block ×3, first 2 shown]
	v_lshlrev_b64 v[3:4], 2, v[3:4]
	v_or_b32_e32 v11, 0x800, v1
	v_or_b32_e32 v13, 0x900, v1
	;; [unrolled: 1-line block ×8, first 2 shown]
	v_lshlrev_b64 v[5:6], 2, v[5:6]
	v_add_co_u32 v25, vcc_lo, s2, v25
	v_add_co_ci_u32_e32 v26, vcc_lo, s3, v26, vcc_lo
	v_lshlrev_b64 v[7:8], 2, v[7:8]
	v_lshlrev_b64 v[0:1], 2, v[1:2]
	v_add_co_u32 v2, vcc_lo, s2, v3
	v_add_co_ci_u32_e32 v3, vcc_lo, s3, v4, vcc_lo
	v_lshlrev_b64 v[9:10], 2, v[9:10]
	v_add_co_u32 v4, vcc_lo, s2, v5
	v_add_co_ci_u32_e32 v5, vcc_lo, s3, v6, vcc_lo
	;; [unrolled: 3-line block ×9, first 2 shown]
	v_add_co_u32 v20, vcc_lo, s2, v21
	v_add_co_ci_u32_e32 v21, vcc_lo, s3, v22, vcc_lo
	v_add_co_u32 v22, vcc_lo, s2, v23
	v_add_co_ci_u32_e32 v23, vcc_lo, s3, v24, vcc_lo
	;; [unrolled: 2-line block ×3, first 2 shown]
	s_waitcnt vmcnt(15)
	global_store_b32 v[25:26], v27, off
	s_waitcnt vmcnt(14)
	global_store_b32 v[25:26], v28, off offset:1024
	s_waitcnt vmcnt(13)
	global_store_b32 v[25:26], v29, off offset:2048
	;; [unrolled: 2-line block ×3, first 2 shown]
	s_waitcnt vmcnt(11)
	global_store_b32 v[2:3], v31, off
	s_waitcnt vmcnt(10)
	global_store_b32 v[4:5], v32, off
	;; [unrolled: 2-line block ×12, first 2 shown]
	s_nop 0
	s_sendmsg sendmsg(MSG_DEALLOC_VGPRS)
	s_endpgm
	.section	.rodata,"a",@progbits
	.p2align	6, 0x0
	.amdhsa_kernel _Z16warp_load_kernelILj256ELj16ELj32ELN6hipcub17WarpLoadAlgorithmE1EiEvPT3_S3_
		.amdhsa_group_segment_fixed_size 0
		.amdhsa_private_segment_fixed_size 0
		.amdhsa_kernarg_size 16
		.amdhsa_user_sgpr_count 15
		.amdhsa_user_sgpr_dispatch_ptr 0
		.amdhsa_user_sgpr_queue_ptr 0
		.amdhsa_user_sgpr_kernarg_segment_ptr 1
		.amdhsa_user_sgpr_dispatch_id 0
		.amdhsa_user_sgpr_private_segment_size 0
		.amdhsa_wavefront_size32 1
		.amdhsa_uses_dynamic_stack 0
		.amdhsa_enable_private_segment 0
		.amdhsa_system_sgpr_workgroup_id_x 1
		.amdhsa_system_sgpr_workgroup_id_y 0
		.amdhsa_system_sgpr_workgroup_id_z 0
		.amdhsa_system_sgpr_workgroup_info 0
		.amdhsa_system_vgpr_workitem_id 0
		.amdhsa_next_free_vgpr 43
		.amdhsa_next_free_sgpr 16
		.amdhsa_reserve_vcc 1
		.amdhsa_float_round_mode_32 0
		.amdhsa_float_round_mode_16_64 0
		.amdhsa_float_denorm_mode_32 3
		.amdhsa_float_denorm_mode_16_64 3
		.amdhsa_dx10_clamp 1
		.amdhsa_ieee_mode 1
		.amdhsa_fp16_overflow 0
		.amdhsa_workgroup_processor_mode 1
		.amdhsa_memory_ordered 1
		.amdhsa_forward_progress 0
		.amdhsa_shared_vgpr_count 0
		.amdhsa_exception_fp_ieee_invalid_op 0
		.amdhsa_exception_fp_denorm_src 0
		.amdhsa_exception_fp_ieee_div_zero 0
		.amdhsa_exception_fp_ieee_overflow 0
		.amdhsa_exception_fp_ieee_underflow 0
		.amdhsa_exception_fp_ieee_inexact 0
		.amdhsa_exception_int_div_zero 0
	.end_amdhsa_kernel
	.section	.text._Z16warp_load_kernelILj256ELj16ELj32ELN6hipcub17WarpLoadAlgorithmE1EiEvPT3_S3_,"axG",@progbits,_Z16warp_load_kernelILj256ELj16ELj32ELN6hipcub17WarpLoadAlgorithmE1EiEvPT3_S3_,comdat
.Lfunc_end9:
	.size	_Z16warp_load_kernelILj256ELj16ELj32ELN6hipcub17WarpLoadAlgorithmE1EiEvPT3_S3_, .Lfunc_end9-_Z16warp_load_kernelILj256ELj16ELj32ELN6hipcub17WarpLoadAlgorithmE1EiEvPT3_S3_
                                        ; -- End function
	.section	.AMDGPU.csdata,"",@progbits
; Kernel info:
; codeLenInByte = 828
; NumSgprs: 18
; NumVgprs: 43
; ScratchSize: 0
; MemoryBound: 0
; FloatMode: 240
; IeeeMode: 1
; LDSByteSize: 0 bytes/workgroup (compile time only)
; SGPRBlocks: 2
; VGPRBlocks: 5
; NumSGPRsForWavesPerEU: 18
; NumVGPRsForWavesPerEU: 43
; Occupancy: 16
; WaveLimiterHint : 1
; COMPUTE_PGM_RSRC2:SCRATCH_EN: 0
; COMPUTE_PGM_RSRC2:USER_SGPR: 15
; COMPUTE_PGM_RSRC2:TRAP_HANDLER: 0
; COMPUTE_PGM_RSRC2:TGID_X_EN: 1
; COMPUTE_PGM_RSRC2:TGID_Y_EN: 0
; COMPUTE_PGM_RSRC2:TGID_Z_EN: 0
; COMPUTE_PGM_RSRC2:TIDIG_COMP_CNT: 0
	.section	.text._Z16warp_load_kernelILj256ELj16ELj32ELN6hipcub17WarpLoadAlgorithmE2EiEvPT3_S3_,"axG",@progbits,_Z16warp_load_kernelILj256ELj16ELj32ELN6hipcub17WarpLoadAlgorithmE2EiEvPT3_S3_,comdat
	.protected	_Z16warp_load_kernelILj256ELj16ELj32ELN6hipcub17WarpLoadAlgorithmE2EiEvPT3_S3_ ; -- Begin function _Z16warp_load_kernelILj256ELj16ELj32ELN6hipcub17WarpLoadAlgorithmE2EiEvPT3_S3_
	.globl	_Z16warp_load_kernelILj256ELj16ELj32ELN6hipcub17WarpLoadAlgorithmE2EiEvPT3_S3_
	.p2align	8
	.type	_Z16warp_load_kernelILj256ELj16ELj32ELN6hipcub17WarpLoadAlgorithmE2EiEvPT3_S3_,@function
_Z16warp_load_kernelILj256ELj16ELj32ELN6hipcub17WarpLoadAlgorithmE2EiEvPT3_S3_: ; @_Z16warp_load_kernelILj256ELj16ELj32ELN6hipcub17WarpLoadAlgorithmE2EiEvPT3_S3_
; %bb.0:
	s_load_b128 s[0:3], s[0:1], 0x0
	v_dual_mov_b32 v18, 0 :: v_dual_lshlrev_b32 v1, 4, v0
	s_lshl_b32 s4, s15, 12
	v_mbcnt_lo_u32_b32 v3, -1, 0
	s_delay_alu instid0(VALU_DEP_2) | instskip(NEXT) | instid1(VALU_DEP_3)
	v_and_or_b32 v17, 0xe00, v1, s4
	v_mov_b32_e32 v20, v18
	s_delay_alu instid0(VALU_DEP_3) | instskip(SKIP_1) | instid1(VALU_DEP_4)
	v_dual_mov_b32 v22, v18 :: v_dual_lshlrev_b32 v3, 6, v3
	v_mov_b32_e32 v24, v18
	v_lshlrev_b64 v[1:2], 2, v[17:18]
	v_or_b32_e32 v17, s4, v0
	v_mov_b32_e32 v26, v18
	v_mov_b32_e32 v28, v18
	;; [unrolled: 1-line block ×4, first 2 shown]
	v_or_b32_e32 v19, 0x400, v17
	v_lshlrev_b64 v[41:42], 2, v[17:18]
	v_or_b32_e32 v21, 0x500, v17
	s_waitcnt lgkmcnt(0)
	v_add_co_u32 v1, vcc_lo, s0, v1
	v_add_co_ci_u32_e32 v2, vcc_lo, s1, v2, vcc_lo
	v_lshlrev_b64 v[19:20], 2, v[19:20]
	s_delay_alu instid0(VALU_DEP_3) | instskip(NEXT) | instid1(VALU_DEP_3)
	v_add_co_u32 v13, vcc_lo, v1, v3
	v_add_co_ci_u32_e32 v14, vcc_lo, 0, v2, vcc_lo
	v_or_b32_e32 v23, 0x600, v17
	v_lshlrev_b64 v[21:22], 2, v[21:22]
	v_add_co_u32 v41, vcc_lo, s2, v41
	s_clause 0x3
	global_load_b128 v[1:4], v[13:14], off
	global_load_b128 v[5:8], v[13:14], off offset:16
	global_load_b128 v[9:12], v[13:14], off offset:32
	;; [unrolled: 1-line block ×3, first 2 shown]
	v_or_b32_e32 v25, 0x700, v17
	v_add_co_ci_u32_e32 v42, vcc_lo, s3, v42, vcc_lo
	v_lshlrev_b64 v[23:24], 2, v[23:24]
	v_add_co_u32 v19, vcc_lo, s2, v19
	v_or_b32_e32 v27, 0x800, v17
	v_add_co_ci_u32_e32 v20, vcc_lo, s3, v20, vcc_lo
	v_lshlrev_b64 v[25:26], 2, v[25:26]
	v_add_co_u32 v21, vcc_lo, s2, v21
	;; [unrolled: 4-line block ×4, first 2 shown]
	v_mov_b32_e32 v34, v18
	v_or_b32_e32 v33, 0xb00, v17
	v_add_co_ci_u32_e32 v26, vcc_lo, s3, v26, vcc_lo
	v_lshlrev_b64 v[31:32], 2, v[31:32]
	v_add_co_u32 v27, vcc_lo, s2, v27
	v_mov_b32_e32 v36, v18
	v_or_b32_e32 v35, 0xc00, v17
	v_add_co_ci_u32_e32 v28, vcc_lo, s3, v28, vcc_lo
	v_lshlrev_b64 v[33:34], 2, v[33:34]
	v_add_co_u32 v29, vcc_lo, s2, v29
	;; [unrolled: 5-line block ×4, first 2 shown]
	v_or_b32_e32 v17, 0xf00, v17
	v_add_co_ci_u32_e32 v34, vcc_lo, s3, v34, vcc_lo
	v_lshlrev_b64 v[39:40], 2, v[39:40]
	v_add_co_u32 v35, vcc_lo, s2, v35
	v_add_co_ci_u32_e32 v36, vcc_lo, s3, v36, vcc_lo
	v_lshlrev_b64 v[17:18], 2, v[17:18]
	v_add_co_u32 v37, vcc_lo, s2, v37
	v_add_co_ci_u32_e32 v38, vcc_lo, s3, v38, vcc_lo
	v_add_co_u32 v39, vcc_lo, s2, v39
	v_add_co_ci_u32_e32 v40, vcc_lo, s3, v40, vcc_lo
	;; [unrolled: 2-line block ×3, first 2 shown]
	s_waitcnt vmcnt(3)
	s_clause 0x3
	global_store_b32 v[41:42], v1, off
	global_store_b32 v[41:42], v2, off offset:1024
	global_store_b32 v[41:42], v3, off offset:2048
	;; [unrolled: 1-line block ×3, first 2 shown]
	s_waitcnt vmcnt(2)
	s_clause 0x3
	global_store_b32 v[19:20], v5, off
	global_store_b32 v[21:22], v6, off
	global_store_b32 v[23:24], v7, off
	global_store_b32 v[25:26], v8, off
	s_waitcnt vmcnt(1)
	s_clause 0x3
	global_store_b32 v[27:28], v9, off
	global_store_b32 v[29:30], v10, off
	global_store_b32 v[31:32], v11, off
	global_store_b32 v[33:34], v12, off
	s_waitcnt vmcnt(0)
	s_clause 0x3
	global_store_b32 v[35:36], v13, off
	global_store_b32 v[37:38], v14, off
	global_store_b32 v[39:40], v15, off
	global_store_b32 v[17:18], v16, off
	s_nop 0
	s_sendmsg sendmsg(MSG_DEALLOC_VGPRS)
	s_endpgm
	.section	.rodata,"a",@progbits
	.p2align	6, 0x0
	.amdhsa_kernel _Z16warp_load_kernelILj256ELj16ELj32ELN6hipcub17WarpLoadAlgorithmE2EiEvPT3_S3_
		.amdhsa_group_segment_fixed_size 0
		.amdhsa_private_segment_fixed_size 0
		.amdhsa_kernarg_size 16
		.amdhsa_user_sgpr_count 15
		.amdhsa_user_sgpr_dispatch_ptr 0
		.amdhsa_user_sgpr_queue_ptr 0
		.amdhsa_user_sgpr_kernarg_segment_ptr 1
		.amdhsa_user_sgpr_dispatch_id 0
		.amdhsa_user_sgpr_private_segment_size 0
		.amdhsa_wavefront_size32 1
		.amdhsa_uses_dynamic_stack 0
		.amdhsa_enable_private_segment 0
		.amdhsa_system_sgpr_workgroup_id_x 1
		.amdhsa_system_sgpr_workgroup_id_y 0
		.amdhsa_system_sgpr_workgroup_id_z 0
		.amdhsa_system_sgpr_workgroup_info 0
		.amdhsa_system_vgpr_workitem_id 0
		.amdhsa_next_free_vgpr 43
		.amdhsa_next_free_sgpr 16
		.amdhsa_reserve_vcc 1
		.amdhsa_float_round_mode_32 0
		.amdhsa_float_round_mode_16_64 0
		.amdhsa_float_denorm_mode_32 3
		.amdhsa_float_denorm_mode_16_64 3
		.amdhsa_dx10_clamp 1
		.amdhsa_ieee_mode 1
		.amdhsa_fp16_overflow 0
		.amdhsa_workgroup_processor_mode 1
		.amdhsa_memory_ordered 1
		.amdhsa_forward_progress 0
		.amdhsa_shared_vgpr_count 0
		.amdhsa_exception_fp_ieee_invalid_op 0
		.amdhsa_exception_fp_denorm_src 0
		.amdhsa_exception_fp_ieee_div_zero 0
		.amdhsa_exception_fp_ieee_overflow 0
		.amdhsa_exception_fp_ieee_underflow 0
		.amdhsa_exception_fp_ieee_inexact 0
		.amdhsa_exception_int_div_zero 0
	.end_amdhsa_kernel
	.section	.text._Z16warp_load_kernelILj256ELj16ELj32ELN6hipcub17WarpLoadAlgorithmE2EiEvPT3_S3_,"axG",@progbits,_Z16warp_load_kernelILj256ELj16ELj32ELN6hipcub17WarpLoadAlgorithmE2EiEvPT3_S3_,comdat
.Lfunc_end10:
	.size	_Z16warp_load_kernelILj256ELj16ELj32ELN6hipcub17WarpLoadAlgorithmE2EiEvPT3_S3_, .Lfunc_end10-_Z16warp_load_kernelILj256ELj16ELj32ELN6hipcub17WarpLoadAlgorithmE2EiEvPT3_S3_
                                        ; -- End function
	.section	.AMDGPU.csdata,"",@progbits
; Kernel info:
; codeLenInByte = 704
; NumSgprs: 18
; NumVgprs: 43
; ScratchSize: 0
; MemoryBound: 0
; FloatMode: 240
; IeeeMode: 1
; LDSByteSize: 0 bytes/workgroup (compile time only)
; SGPRBlocks: 2
; VGPRBlocks: 5
; NumSGPRsForWavesPerEU: 18
; NumVGPRsForWavesPerEU: 43
; Occupancy: 16
; WaveLimiterHint : 1
; COMPUTE_PGM_RSRC2:SCRATCH_EN: 0
; COMPUTE_PGM_RSRC2:USER_SGPR: 15
; COMPUTE_PGM_RSRC2:TRAP_HANDLER: 0
; COMPUTE_PGM_RSRC2:TGID_X_EN: 1
; COMPUTE_PGM_RSRC2:TGID_Y_EN: 0
; COMPUTE_PGM_RSRC2:TGID_Z_EN: 0
; COMPUTE_PGM_RSRC2:TIDIG_COMP_CNT: 0
	.section	.text._Z16warp_load_kernelILj256ELj16ELj32ELN6hipcub17WarpLoadAlgorithmE3EiEvPT3_S3_,"axG",@progbits,_Z16warp_load_kernelILj256ELj16ELj32ELN6hipcub17WarpLoadAlgorithmE3EiEvPT3_S3_,comdat
	.protected	_Z16warp_load_kernelILj256ELj16ELj32ELN6hipcub17WarpLoadAlgorithmE3EiEvPT3_S3_ ; -- Begin function _Z16warp_load_kernelILj256ELj16ELj32ELN6hipcub17WarpLoadAlgorithmE3EiEvPT3_S3_
	.globl	_Z16warp_load_kernelILj256ELj16ELj32ELN6hipcub17WarpLoadAlgorithmE3EiEvPT3_S3_
	.p2align	8
	.type	_Z16warp_load_kernelILj256ELj16ELj32ELN6hipcub17WarpLoadAlgorithmE3EiEvPT3_S3_,@function
_Z16warp_load_kernelILj256ELj16ELj32ELN6hipcub17WarpLoadAlgorithmE3EiEvPT3_S3_: ; @_Z16warp_load_kernelILj256ELj16ELj32ELN6hipcub17WarpLoadAlgorithmE3EiEvPT3_S3_
; %bb.0:
	s_load_b128 s[0:3], s[0:1], 0x0
	v_lshrrev_b32_e32 v5, 5, v0
	s_lshl_b32 s4, s15, 12
	v_mbcnt_lo_u32_b32 v7, -1, 0
	v_mov_b32_e32 v2, 0
	s_delay_alu instid0(VALU_DEP_3) | instskip(NEXT) | instid1(VALU_DEP_1)
	v_lshl_or_b32 v1, v5, 9, s4
	v_lshlrev_b64 v[3:4], 2, v[1:2]
	s_delay_alu instid0(VALU_DEP_4)
	v_dual_mov_b32 v6, v2 :: v_dual_lshlrev_b32 v1, 2, v7
	v_mov_b32_e32 v8, v2
	v_mov_b32_e32 v10, v2
	;; [unrolled: 1-line block ×6, first 2 shown]
	s_waitcnt lgkmcnt(0)
	v_add_co_u32 v3, vcc_lo, s0, v3
	v_add_co_ci_u32_e32 v4, vcc_lo, s1, v4, vcc_lo
	v_mov_b32_e32 v20, v2
	s_delay_alu instid0(VALU_DEP_3) | instskip(NEXT) | instid1(VALU_DEP_3)
	v_add_co_u32 v3, vcc_lo, v3, v1
	v_add_co_ci_u32_e32 v4, vcc_lo, 0, v4, vcc_lo
	v_mov_b32_e32 v22, v2
	v_mov_b32_e32 v24, v2
	s_clause 0xf
	global_load_b32 v43, v[3:4], off
	global_load_b32 v44, v[3:4], off offset:128
	global_load_b32 v45, v[3:4], off offset:256
	;; [unrolled: 1-line block ×15, first 2 shown]
	v_dual_mov_b32 v4, v2 :: v_dual_lshlrev_b32 v3, 11, v5
	s_delay_alu instid0(VALU_DEP_1) | instskip(SKIP_2) | instid1(VALU_DEP_3)
	v_or_b32_e32 v59, v3, v1
	v_or_b32_e32 v1, s4, v0
	v_lshl_or_b32 v60, v7, 6, v3
	v_add_nc_u32_e32 v0, 0x400, v59
	s_delay_alu instid0(VALU_DEP_3)
	v_or_b32_e32 v3, 0x400, v1
	v_lshlrev_b64 v[25:26], 2, v[1:2]
	v_or_b32_e32 v5, 0x500, v1
	v_or_b32_e32 v7, 0x600, v1
	;; [unrolled: 1-line block ×3, first 2 shown]
	v_lshlrev_b64 v[3:4], 2, v[3:4]
	v_or_b32_e32 v11, 0x800, v1
	v_lshlrev_b64 v[5:6], 2, v[5:6]
	v_add_co_u32 v25, vcc_lo, s2, v25
	v_add_co_ci_u32_e32 v26, vcc_lo, s3, v26, vcc_lo
	v_lshlrev_b64 v[7:8], 2, v[7:8]
	v_add_co_u32 v29, vcc_lo, s2, v3
	v_add_co_ci_u32_e32 v30, vcc_lo, s3, v4, vcc_lo
	v_lshlrev_b64 v[9:10], 2, v[9:10]
	v_add_co_u32 v31, vcc_lo, s2, v5
	v_or_b32_e32 v13, 0x900, v1
	v_add_co_ci_u32_e32 v32, vcc_lo, s3, v6, vcc_lo
	v_lshlrev_b64 v[11:12], 2, v[11:12]
	v_add_co_u32 v33, vcc_lo, s2, v7
	v_or_b32_e32 v15, 0xa00, v1
	;; [unrolled: 4-line block ×3, first 2 shown]
	v_or_b32_e32 v19, 0xc00, v1
	v_or_b32_e32 v21, 0xd00, v1
	;; [unrolled: 1-line block ×4, first 2 shown]
	v_add_co_ci_u32_e32 v36, vcc_lo, s3, v10, vcc_lo
	v_lshlrev_b64 v[15:16], 2, v[15:16]
	v_add_co_u32 v37, vcc_lo, s2, v11
	v_add_co_ci_u32_e32 v38, vcc_lo, s3, v12, vcc_lo
	v_lshlrev_b64 v[17:18], 2, v[17:18]
	v_lshlrev_b64 v[27:28], 2, v[1:2]
	v_add_co_u32 v39, vcc_lo, s2, v13
	v_add_co_ci_u32_e32 v40, vcc_lo, s3, v14, vcc_lo
	v_lshlrev_b64 v[19:20], 2, v[19:20]
	v_add_co_u32 v41, vcc_lo, s2, v15
	v_add_co_ci_u32_e32 v42, vcc_lo, s3, v16, vcc_lo
	v_lshlrev_b64 v[21:22], 2, v[21:22]
	v_add_co_u32 v16, vcc_lo, s2, v17
	v_add_co_ci_u32_e32 v17, vcc_lo, s3, v18, vcc_lo
	v_lshlrev_b64 v[23:24], 2, v[23:24]
	v_add_co_u32 v18, vcc_lo, s2, v19
	v_add_co_ci_u32_e32 v19, vcc_lo, s3, v20, vcc_lo
	v_add_co_u32 v20, vcc_lo, s2, v21
	v_add_co_ci_u32_e32 v21, vcc_lo, s3, v22, vcc_lo
	v_add_co_u32 v22, vcc_lo, s2, v23
	v_add_co_ci_u32_e32 v23, vcc_lo, s3, v24, vcc_lo
	;; [unrolled: 2-line block ×3, first 2 shown]
	s_waitcnt vmcnt(14)
	ds_store_2addr_b32 v59, v43, v44 offset1:32
	s_waitcnt vmcnt(12)
	ds_store_2addr_b32 v59, v45, v46 offset0:64 offset1:96
	s_waitcnt vmcnt(10)
	ds_store_2addr_b32 v59, v47, v48 offset0:128 offset1:160
	;; [unrolled: 2-line block ×3, first 2 shown]
	s_waitcnt vmcnt(6)
	ds_store_2addr_b32 v0, v51, v52 offset1:32
	s_waitcnt vmcnt(4)
	ds_store_2addr_b32 v0, v53, v54 offset0:64 offset1:96
	s_waitcnt vmcnt(2)
	ds_store_2addr_b32 v0, v55, v56 offset0:128 offset1:160
	;; [unrolled: 2-line block ×3, first 2 shown]
	; wave barrier
	ds_load_b128 v[0:3], v60
	ds_load_b128 v[4:7], v60 offset:16
	ds_load_b128 v[8:11], v60 offset:32
	;; [unrolled: 1-line block ×3, first 2 shown]
	s_waitcnt lgkmcnt(3)
	s_clause 0x3
	global_store_b32 v[25:26], v0, off
	global_store_b32 v[25:26], v1, off offset:1024
	global_store_b32 v[25:26], v2, off offset:2048
	;; [unrolled: 1-line block ×3, first 2 shown]
	s_waitcnt lgkmcnt(2)
	s_clause 0x3
	global_store_b32 v[29:30], v4, off
	global_store_b32 v[31:32], v5, off
	global_store_b32 v[33:34], v6, off
	global_store_b32 v[35:36], v7, off
	s_waitcnt lgkmcnt(1)
	s_clause 0x3
	global_store_b32 v[37:38], v8, off
	global_store_b32 v[39:40], v9, off
	global_store_b32 v[41:42], v10, off
	global_store_b32 v[16:17], v11, off
	;; [unrolled: 6-line block ×3, first 2 shown]
	s_nop 0
	s_sendmsg sendmsg(MSG_DEALLOC_VGPRS)
	s_endpgm
	.section	.rodata,"a",@progbits
	.p2align	6, 0x0
	.amdhsa_kernel _Z16warp_load_kernelILj256ELj16ELj32ELN6hipcub17WarpLoadAlgorithmE3EiEvPT3_S3_
		.amdhsa_group_segment_fixed_size 16384
		.amdhsa_private_segment_fixed_size 0
		.amdhsa_kernarg_size 16
		.amdhsa_user_sgpr_count 15
		.amdhsa_user_sgpr_dispatch_ptr 0
		.amdhsa_user_sgpr_queue_ptr 0
		.amdhsa_user_sgpr_kernarg_segment_ptr 1
		.amdhsa_user_sgpr_dispatch_id 0
		.amdhsa_user_sgpr_private_segment_size 0
		.amdhsa_wavefront_size32 1
		.amdhsa_uses_dynamic_stack 0
		.amdhsa_enable_private_segment 0
		.amdhsa_system_sgpr_workgroup_id_x 1
		.amdhsa_system_sgpr_workgroup_id_y 0
		.amdhsa_system_sgpr_workgroup_id_z 0
		.amdhsa_system_sgpr_workgroup_info 0
		.amdhsa_system_vgpr_workitem_id 0
		.amdhsa_next_free_vgpr 61
		.amdhsa_next_free_sgpr 16
		.amdhsa_reserve_vcc 1
		.amdhsa_float_round_mode_32 0
		.amdhsa_float_round_mode_16_64 0
		.amdhsa_float_denorm_mode_32 3
		.amdhsa_float_denorm_mode_16_64 3
		.amdhsa_dx10_clamp 1
		.amdhsa_ieee_mode 1
		.amdhsa_fp16_overflow 0
		.amdhsa_workgroup_processor_mode 1
		.amdhsa_memory_ordered 1
		.amdhsa_forward_progress 0
		.amdhsa_shared_vgpr_count 0
		.amdhsa_exception_fp_ieee_invalid_op 0
		.amdhsa_exception_fp_denorm_src 0
		.amdhsa_exception_fp_ieee_div_zero 0
		.amdhsa_exception_fp_ieee_overflow 0
		.amdhsa_exception_fp_ieee_underflow 0
		.amdhsa_exception_fp_ieee_inexact 0
		.amdhsa_exception_int_div_zero 0
	.end_amdhsa_kernel
	.section	.text._Z16warp_load_kernelILj256ELj16ELj32ELN6hipcub17WarpLoadAlgorithmE3EiEvPT3_S3_,"axG",@progbits,_Z16warp_load_kernelILj256ELj16ELj32ELN6hipcub17WarpLoadAlgorithmE3EiEvPT3_S3_,comdat
.Lfunc_end11:
	.size	_Z16warp_load_kernelILj256ELj16ELj32ELN6hipcub17WarpLoadAlgorithmE3EiEvPT3_S3_, .Lfunc_end11-_Z16warp_load_kernelILj256ELj16ELj32ELN6hipcub17WarpLoadAlgorithmE3EiEvPT3_S3_
                                        ; -- End function
	.section	.AMDGPU.csdata,"",@progbits
; Kernel info:
; codeLenInByte = 956
; NumSgprs: 18
; NumVgprs: 61
; ScratchSize: 0
; MemoryBound: 1
; FloatMode: 240
; IeeeMode: 1
; LDSByteSize: 16384 bytes/workgroup (compile time only)
; SGPRBlocks: 2
; VGPRBlocks: 7
; NumSGPRsForWavesPerEU: 18
; NumVGPRsForWavesPerEU: 61
; Occupancy: 16
; WaveLimiterHint : 1
; COMPUTE_PGM_RSRC2:SCRATCH_EN: 0
; COMPUTE_PGM_RSRC2:USER_SGPR: 15
; COMPUTE_PGM_RSRC2:TRAP_HANDLER: 0
; COMPUTE_PGM_RSRC2:TGID_X_EN: 1
; COMPUTE_PGM_RSRC2:TGID_Y_EN: 0
; COMPUTE_PGM_RSRC2:TGID_Z_EN: 0
; COMPUTE_PGM_RSRC2:TIDIG_COMP_CNT: 0
	.section	.text._Z16warp_load_kernelILj256ELj32ELj32ELN6hipcub17WarpLoadAlgorithmE0EiEvPT3_S3_,"axG",@progbits,_Z16warp_load_kernelILj256ELj32ELj32ELN6hipcub17WarpLoadAlgorithmE0EiEvPT3_S3_,comdat
	.protected	_Z16warp_load_kernelILj256ELj32ELj32ELN6hipcub17WarpLoadAlgorithmE0EiEvPT3_S3_ ; -- Begin function _Z16warp_load_kernelILj256ELj32ELj32ELN6hipcub17WarpLoadAlgorithmE0EiEvPT3_S3_
	.globl	_Z16warp_load_kernelILj256ELj32ELj32ELN6hipcub17WarpLoadAlgorithmE0EiEvPT3_S3_
	.p2align	8
	.type	_Z16warp_load_kernelILj256ELj32ELj32ELN6hipcub17WarpLoadAlgorithmE0EiEvPT3_S3_,@function
_Z16warp_load_kernelILj256ELj32ELj32ELN6hipcub17WarpLoadAlgorithmE0EiEvPT3_S3_: ; @_Z16warp_load_kernelILj256ELj32ELj32ELN6hipcub17WarpLoadAlgorithmE0EiEvPT3_S3_
; %bb.0:
	s_load_b128 s[0:3], s[0:1], 0x0
	v_dual_mov_b32 v34, 0 :: v_dual_lshlrev_b32 v1, 5, v0
	s_lshl_b32 s4, s15, 13
	v_mbcnt_lo_u32_b32 v3, -1, 0
	s_delay_alu instid0(VALU_DEP_2) | instskip(NEXT) | instid1(VALU_DEP_3)
	v_and_or_b32 v33, 0x1c00, v1, s4
	v_mov_b32_e32 v36, v34
	s_delay_alu instid0(VALU_DEP_3) | instskip(SKIP_1) | instid1(VALU_DEP_4)
	v_dual_mov_b32 v38, v34 :: v_dual_lshlrev_b32 v3, 7, v3
	v_mov_b32_e32 v40, v34
	v_lshlrev_b64 v[1:2], 2, v[33:34]
	v_or_b32_e32 v33, s4, v0
	v_mov_b32_e32 v42, v34
	v_mov_b32_e32 v44, v34
	;; [unrolled: 1-line block ×4, first 2 shown]
	v_or_b32_e32 v35, 0x400, v33
	v_lshlrev_b64 v[89:90], 2, v[33:34]
	v_or_b32_e32 v37, 0x500, v33
	s_waitcnt lgkmcnt(0)
	v_add_co_u32 v1, vcc_lo, s0, v1
	v_add_co_ci_u32_e32 v2, vcc_lo, s1, v2, vcc_lo
	v_lshlrev_b64 v[35:36], 2, v[35:36]
	s_delay_alu instid0(VALU_DEP_3) | instskip(NEXT) | instid1(VALU_DEP_3)
	v_add_co_u32 v29, vcc_lo, v1, v3
	v_add_co_ci_u32_e32 v30, vcc_lo, 0, v2, vcc_lo
	v_or_b32_e32 v39, 0x600, v33
	v_lshlrev_b64 v[37:38], 2, v[37:38]
	v_add_co_u32 v89, vcc_lo, s2, v89
	s_clause 0x7
	global_load_b128 v[1:4], v[29:30], off
	global_load_b128 v[5:8], v[29:30], off offset:16
	global_load_b128 v[9:12], v[29:30], off offset:32
	;; [unrolled: 1-line block ×7, first 2 shown]
	v_or_b32_e32 v41, 0x700, v33
	v_add_co_ci_u32_e32 v90, vcc_lo, s3, v90, vcc_lo
	v_lshlrev_b64 v[39:40], 2, v[39:40]
	v_add_co_u32 v35, vcc_lo, s2, v35
	v_or_b32_e32 v43, 0x800, v33
	v_add_co_ci_u32_e32 v36, vcc_lo, s3, v36, vcc_lo
	v_lshlrev_b64 v[41:42], 2, v[41:42]
	v_add_co_u32 v37, vcc_lo, s2, v37
	;; [unrolled: 4-line block ×4, first 2 shown]
	v_mov_b32_e32 v50, v34
	v_or_b32_e32 v49, 0xb00, v33
	v_add_co_ci_u32_e32 v42, vcc_lo, s3, v42, vcc_lo
	v_lshlrev_b64 v[47:48], 2, v[47:48]
	v_add_co_u32 v43, vcc_lo, s2, v43
	v_mov_b32_e32 v52, v34
	v_or_b32_e32 v51, 0xc00, v33
	v_add_co_ci_u32_e32 v44, vcc_lo, s3, v44, vcc_lo
	v_lshlrev_b64 v[49:50], 2, v[49:50]
	v_add_co_u32 v45, vcc_lo, s2, v45
	;; [unrolled: 5-line block ×20, first 2 shown]
	v_or_b32_e32 v33, 0x1f00, v33
	v_add_co_ci_u32_e32 v82, vcc_lo, s3, v82, vcc_lo
	v_lshlrev_b64 v[87:88], 2, v[87:88]
	v_add_co_u32 v83, vcc_lo, s2, v83
	v_add_co_ci_u32_e32 v84, vcc_lo, s3, v84, vcc_lo
	v_lshlrev_b64 v[33:34], 2, v[33:34]
	v_add_co_u32 v85, vcc_lo, s2, v85
	v_add_co_ci_u32_e32 v86, vcc_lo, s3, v86, vcc_lo
	v_add_co_u32 v87, vcc_lo, s2, v87
	v_add_co_ci_u32_e32 v88, vcc_lo, s3, v88, vcc_lo
	;; [unrolled: 2-line block ×3, first 2 shown]
	s_waitcnt vmcnt(7)
	s_clause 0x3
	global_store_b32 v[89:90], v1, off
	global_store_b32 v[89:90], v2, off offset:1024
	global_store_b32 v[89:90], v3, off offset:2048
	;; [unrolled: 1-line block ×3, first 2 shown]
	s_waitcnt vmcnt(6)
	s_clause 0x3
	global_store_b32 v[35:36], v5, off
	global_store_b32 v[37:38], v6, off
	global_store_b32 v[39:40], v7, off
	global_store_b32 v[41:42], v8, off
	s_waitcnt vmcnt(5)
	s_clause 0x3
	global_store_b32 v[43:44], v9, off
	global_store_b32 v[45:46], v10, off
	global_store_b32 v[47:48], v11, off
	global_store_b32 v[49:50], v12, off
	;; [unrolled: 6-line block ×7, first 2 shown]
	s_nop 0
	s_sendmsg sendmsg(MSG_DEALLOC_VGPRS)
	s_endpgm
	.section	.rodata,"a",@progbits
	.p2align	6, 0x0
	.amdhsa_kernel _Z16warp_load_kernelILj256ELj32ELj32ELN6hipcub17WarpLoadAlgorithmE0EiEvPT3_S3_
		.amdhsa_group_segment_fixed_size 0
		.amdhsa_private_segment_fixed_size 0
		.amdhsa_kernarg_size 16
		.amdhsa_user_sgpr_count 15
		.amdhsa_user_sgpr_dispatch_ptr 0
		.amdhsa_user_sgpr_queue_ptr 0
		.amdhsa_user_sgpr_kernarg_segment_ptr 1
		.amdhsa_user_sgpr_dispatch_id 0
		.amdhsa_user_sgpr_private_segment_size 0
		.amdhsa_wavefront_size32 1
		.amdhsa_uses_dynamic_stack 0
		.amdhsa_enable_private_segment 0
		.amdhsa_system_sgpr_workgroup_id_x 1
		.amdhsa_system_sgpr_workgroup_id_y 0
		.amdhsa_system_sgpr_workgroup_id_z 0
		.amdhsa_system_sgpr_workgroup_info 0
		.amdhsa_system_vgpr_workitem_id 0
		.amdhsa_next_free_vgpr 91
		.amdhsa_next_free_sgpr 16
		.amdhsa_reserve_vcc 1
		.amdhsa_float_round_mode_32 0
		.amdhsa_float_round_mode_16_64 0
		.amdhsa_float_denorm_mode_32 3
		.amdhsa_float_denorm_mode_16_64 3
		.amdhsa_dx10_clamp 1
		.amdhsa_ieee_mode 1
		.amdhsa_fp16_overflow 0
		.amdhsa_workgroup_processor_mode 1
		.amdhsa_memory_ordered 1
		.amdhsa_forward_progress 0
		.amdhsa_shared_vgpr_count 0
		.amdhsa_exception_fp_ieee_invalid_op 0
		.amdhsa_exception_fp_denorm_src 0
		.amdhsa_exception_fp_ieee_div_zero 0
		.amdhsa_exception_fp_ieee_overflow 0
		.amdhsa_exception_fp_ieee_underflow 0
		.amdhsa_exception_fp_ieee_inexact 0
		.amdhsa_exception_int_div_zero 0
	.end_amdhsa_kernel
	.section	.text._Z16warp_load_kernelILj256ELj32ELj32ELN6hipcub17WarpLoadAlgorithmE0EiEvPT3_S3_,"axG",@progbits,_Z16warp_load_kernelILj256ELj32ELj32ELN6hipcub17WarpLoadAlgorithmE0EiEvPT3_S3_,comdat
.Lfunc_end12:
	.size	_Z16warp_load_kernelILj256ELj32ELj32ELN6hipcub17WarpLoadAlgorithmE0EiEvPT3_S3_, .Lfunc_end12-_Z16warp_load_kernelILj256ELj32ELj32ELN6hipcub17WarpLoadAlgorithmE0EiEvPT3_S3_
                                        ; -- End function
	.section	.AMDGPU.csdata,"",@progbits
; Kernel info:
; codeLenInByte = 1408
; NumSgprs: 18
; NumVgprs: 91
; ScratchSize: 0
; MemoryBound: 0
; FloatMode: 240
; IeeeMode: 1
; LDSByteSize: 0 bytes/workgroup (compile time only)
; SGPRBlocks: 2
; VGPRBlocks: 11
; NumSGPRsForWavesPerEU: 18
; NumVGPRsForWavesPerEU: 91
; Occupancy: 16
; WaveLimiterHint : 1
; COMPUTE_PGM_RSRC2:SCRATCH_EN: 0
; COMPUTE_PGM_RSRC2:USER_SGPR: 15
; COMPUTE_PGM_RSRC2:TRAP_HANDLER: 0
; COMPUTE_PGM_RSRC2:TGID_X_EN: 1
; COMPUTE_PGM_RSRC2:TGID_Y_EN: 0
; COMPUTE_PGM_RSRC2:TGID_Z_EN: 0
; COMPUTE_PGM_RSRC2:TIDIG_COMP_CNT: 0
	.section	.text._Z16warp_load_kernelILj256ELj32ELj32ELN6hipcub17WarpLoadAlgorithmE1EiEvPT3_S3_,"axG",@progbits,_Z16warp_load_kernelILj256ELj32ELj32ELN6hipcub17WarpLoadAlgorithmE1EiEvPT3_S3_,comdat
	.protected	_Z16warp_load_kernelILj256ELj32ELj32ELN6hipcub17WarpLoadAlgorithmE1EiEvPT3_S3_ ; -- Begin function _Z16warp_load_kernelILj256ELj32ELj32ELN6hipcub17WarpLoadAlgorithmE1EiEvPT3_S3_
	.globl	_Z16warp_load_kernelILj256ELj32ELj32ELN6hipcub17WarpLoadAlgorithmE1EiEvPT3_S3_
	.p2align	8
	.type	_Z16warp_load_kernelILj256ELj32ELj32ELN6hipcub17WarpLoadAlgorithmE1EiEvPT3_S3_,@function
_Z16warp_load_kernelILj256ELj32ELj32ELN6hipcub17WarpLoadAlgorithmE1EiEvPT3_S3_: ; @_Z16warp_load_kernelILj256ELj32ELj32ELN6hipcub17WarpLoadAlgorithmE1EiEvPT3_S3_
; %bb.0:
	s_load_b128 s[0:3], s[0:1], 0x0
	v_dual_mov_b32 v2, 0 :: v_dual_lshlrev_b32 v1, 5, v0
	s_lshl_b32 s4, s15, 13
	v_mbcnt_lo_u32_b32 v5, -1, 0
	s_delay_alu instid0(VALU_DEP_2) | instskip(NEXT) | instid1(VALU_DEP_3)
	v_and_or_b32 v1, 0x1c00, v1, s4
	v_mov_b32_e32 v6, v2
	v_mov_b32_e32 v8, v2
	;; [unrolled: 1-line block ×4, first 2 shown]
	v_lshlrev_b64 v[3:4], 2, v[1:2]
	v_dual_mov_b32 v14, v2 :: v_dual_lshlrev_b32 v1, 2, v5
	v_mov_b32_e32 v16, v2
	v_mov_b32_e32 v18, v2
	;; [unrolled: 1-line block ×6, first 2 shown]
	s_waitcnt lgkmcnt(0)
	v_add_co_u32 v3, vcc_lo, s0, v3
	v_add_co_ci_u32_e32 v4, vcc_lo, s1, v4, vcc_lo
	v_mov_b32_e32 v28, v2
	s_delay_alu instid0(VALU_DEP_3) | instskip(NEXT) | instid1(VALU_DEP_3)
	v_add_co_u32 v3, vcc_lo, v3, v1
	v_add_co_ci_u32_e32 v4, vcc_lo, 0, v4, vcc_lo
	v_or_b32_e32 v1, s4, v0
	v_mov_b32_e32 v30, v2
	v_mov_b32_e32 v32, v2
	s_clause 0x1f
	global_load_b32 v59, v[3:4], off
	global_load_b32 v60, v[3:4], off offset:128
	global_load_b32 v61, v[3:4], off offset:256
	;; [unrolled: 1-line block ×31, first 2 shown]
	v_mov_b32_e32 v4, v2
	v_or_b32_e32 v3, 0x400, v1
	v_lshlrev_b64 v[57:58], 2, v[1:2]
	v_or_b32_e32 v5, 0x500, v1
	v_or_b32_e32 v7, 0x600, v1
	;; [unrolled: 1-line block ×3, first 2 shown]
	v_lshlrev_b64 v[3:4], 2, v[3:4]
	v_or_b32_e32 v11, 0x800, v1
	v_or_b32_e32 v13, 0x900, v1
	;; [unrolled: 1-line block ×24, first 2 shown]
	v_lshlrev_b64 v[5:6], 2, v[5:6]
	v_add_co_u32 v57, vcc_lo, s2, v57
	v_add_co_ci_u32_e32 v58, vcc_lo, s3, v58, vcc_lo
	v_mov_b32_e32 v34, v2
	v_mov_b32_e32 v36, v2
	;; [unrolled: 1-line block ×12, first 2 shown]
	v_lshlrev_b64 v[7:8], 2, v[7:8]
	v_lshlrev_b64 v[0:1], 2, v[1:2]
	v_add_co_u32 v2, vcc_lo, s2, v3
	v_add_co_ci_u32_e32 v3, vcc_lo, s3, v4, vcc_lo
	v_lshlrev_b64 v[9:10], 2, v[9:10]
	v_add_co_u32 v4, vcc_lo, s2, v5
	v_add_co_ci_u32_e32 v5, vcc_lo, s3, v6, vcc_lo
	;; [unrolled: 3-line block ×25, first 2 shown]
	v_add_co_u32 v52, vcc_lo, s2, v53
	v_add_co_ci_u32_e32 v53, vcc_lo, s3, v54, vcc_lo
	v_add_co_u32 v54, vcc_lo, s2, v55
	v_add_co_ci_u32_e32 v55, vcc_lo, s3, v56, vcc_lo
	;; [unrolled: 2-line block ×3, first 2 shown]
	s_waitcnt vmcnt(31)
	global_store_b32 v[57:58], v59, off
	s_waitcnt vmcnt(30)
	global_store_b32 v[57:58], v60, off offset:1024
	s_waitcnt vmcnt(29)
	global_store_b32 v[57:58], v61, off offset:2048
	s_waitcnt vmcnt(28)
	global_store_b32 v[57:58], v62, off offset:3072
	s_waitcnt vmcnt(27)
	global_store_b32 v[2:3], v63, off
	s_waitcnt vmcnt(26)
	global_store_b32 v[4:5], v64, off
	;; [unrolled: 2-line block ×28, first 2 shown]
	s_nop 0
	s_sendmsg sendmsg(MSG_DEALLOC_VGPRS)
	s_endpgm
	.section	.rodata,"a",@progbits
	.p2align	6, 0x0
	.amdhsa_kernel _Z16warp_load_kernelILj256ELj32ELj32ELN6hipcub17WarpLoadAlgorithmE1EiEvPT3_S3_
		.amdhsa_group_segment_fixed_size 0
		.amdhsa_private_segment_fixed_size 0
		.amdhsa_kernarg_size 16
		.amdhsa_user_sgpr_count 15
		.amdhsa_user_sgpr_dispatch_ptr 0
		.amdhsa_user_sgpr_queue_ptr 0
		.amdhsa_user_sgpr_kernarg_segment_ptr 1
		.amdhsa_user_sgpr_dispatch_id 0
		.amdhsa_user_sgpr_private_segment_size 0
		.amdhsa_wavefront_size32 1
		.amdhsa_uses_dynamic_stack 0
		.amdhsa_enable_private_segment 0
		.amdhsa_system_sgpr_workgroup_id_x 1
		.amdhsa_system_sgpr_workgroup_id_y 0
		.amdhsa_system_sgpr_workgroup_id_z 0
		.amdhsa_system_sgpr_workgroup_info 0
		.amdhsa_system_vgpr_workitem_id 0
		.amdhsa_next_free_vgpr 91
		.amdhsa_next_free_sgpr 16
		.amdhsa_reserve_vcc 1
		.amdhsa_float_round_mode_32 0
		.amdhsa_float_round_mode_16_64 0
		.amdhsa_float_denorm_mode_32 3
		.amdhsa_float_denorm_mode_16_64 3
		.amdhsa_dx10_clamp 1
		.amdhsa_ieee_mode 1
		.amdhsa_fp16_overflow 0
		.amdhsa_workgroup_processor_mode 1
		.amdhsa_memory_ordered 1
		.amdhsa_forward_progress 0
		.amdhsa_shared_vgpr_count 0
		.amdhsa_exception_fp_ieee_invalid_op 0
		.amdhsa_exception_fp_denorm_src 0
		.amdhsa_exception_fp_ieee_div_zero 0
		.amdhsa_exception_fp_ieee_overflow 0
		.amdhsa_exception_fp_ieee_underflow 0
		.amdhsa_exception_fp_ieee_inexact 0
		.amdhsa_exception_int_div_zero 0
	.end_amdhsa_kernel
	.section	.text._Z16warp_load_kernelILj256ELj32ELj32ELN6hipcub17WarpLoadAlgorithmE1EiEvPT3_S3_,"axG",@progbits,_Z16warp_load_kernelILj256ELj32ELj32ELN6hipcub17WarpLoadAlgorithmE1EiEvPT3_S3_,comdat
.Lfunc_end13:
	.size	_Z16warp_load_kernelILj256ELj32ELj32ELN6hipcub17WarpLoadAlgorithmE1EiEvPT3_S3_, .Lfunc_end13-_Z16warp_load_kernelILj256ELj32ELj32ELN6hipcub17WarpLoadAlgorithmE1EiEvPT3_S3_
                                        ; -- End function
	.section	.AMDGPU.csdata,"",@progbits
; Kernel info:
; codeLenInByte = 1660
; NumSgprs: 18
; NumVgprs: 91
; ScratchSize: 0
; MemoryBound: 0
; FloatMode: 240
; IeeeMode: 1
; LDSByteSize: 0 bytes/workgroup (compile time only)
; SGPRBlocks: 2
; VGPRBlocks: 11
; NumSGPRsForWavesPerEU: 18
; NumVGPRsForWavesPerEU: 91
; Occupancy: 16
; WaveLimiterHint : 1
; COMPUTE_PGM_RSRC2:SCRATCH_EN: 0
; COMPUTE_PGM_RSRC2:USER_SGPR: 15
; COMPUTE_PGM_RSRC2:TRAP_HANDLER: 0
; COMPUTE_PGM_RSRC2:TGID_X_EN: 1
; COMPUTE_PGM_RSRC2:TGID_Y_EN: 0
; COMPUTE_PGM_RSRC2:TGID_Z_EN: 0
; COMPUTE_PGM_RSRC2:TIDIG_COMP_CNT: 0
	.section	.text._Z16warp_load_kernelILj256ELj32ELj32ELN6hipcub17WarpLoadAlgorithmE2EiEvPT3_S3_,"axG",@progbits,_Z16warp_load_kernelILj256ELj32ELj32ELN6hipcub17WarpLoadAlgorithmE2EiEvPT3_S3_,comdat
	.protected	_Z16warp_load_kernelILj256ELj32ELj32ELN6hipcub17WarpLoadAlgorithmE2EiEvPT3_S3_ ; -- Begin function _Z16warp_load_kernelILj256ELj32ELj32ELN6hipcub17WarpLoadAlgorithmE2EiEvPT3_S3_
	.globl	_Z16warp_load_kernelILj256ELj32ELj32ELN6hipcub17WarpLoadAlgorithmE2EiEvPT3_S3_
	.p2align	8
	.type	_Z16warp_load_kernelILj256ELj32ELj32ELN6hipcub17WarpLoadAlgorithmE2EiEvPT3_S3_,@function
_Z16warp_load_kernelILj256ELj32ELj32ELN6hipcub17WarpLoadAlgorithmE2EiEvPT3_S3_: ; @_Z16warp_load_kernelILj256ELj32ELj32ELN6hipcub17WarpLoadAlgorithmE2EiEvPT3_S3_
; %bb.0:
	s_load_b128 s[0:3], s[0:1], 0x0
	v_dual_mov_b32 v34, 0 :: v_dual_lshlrev_b32 v1, 5, v0
	s_lshl_b32 s4, s15, 13
	v_mbcnt_lo_u32_b32 v3, -1, 0
	s_delay_alu instid0(VALU_DEP_2) | instskip(NEXT) | instid1(VALU_DEP_3)
	v_and_or_b32 v33, 0x1c00, v1, s4
	v_mov_b32_e32 v36, v34
	s_delay_alu instid0(VALU_DEP_3) | instskip(SKIP_1) | instid1(VALU_DEP_4)
	v_dual_mov_b32 v38, v34 :: v_dual_lshlrev_b32 v3, 7, v3
	v_mov_b32_e32 v40, v34
	v_lshlrev_b64 v[1:2], 2, v[33:34]
	v_or_b32_e32 v33, s4, v0
	v_mov_b32_e32 v42, v34
	v_mov_b32_e32 v44, v34
	;; [unrolled: 1-line block ×4, first 2 shown]
	v_or_b32_e32 v35, 0x400, v33
	v_lshlrev_b64 v[89:90], 2, v[33:34]
	v_or_b32_e32 v37, 0x500, v33
	s_waitcnt lgkmcnt(0)
	v_add_co_u32 v1, vcc_lo, s0, v1
	v_add_co_ci_u32_e32 v2, vcc_lo, s1, v2, vcc_lo
	v_lshlrev_b64 v[35:36], 2, v[35:36]
	s_delay_alu instid0(VALU_DEP_3) | instskip(NEXT) | instid1(VALU_DEP_3)
	v_add_co_u32 v29, vcc_lo, v1, v3
	v_add_co_ci_u32_e32 v30, vcc_lo, 0, v2, vcc_lo
	v_or_b32_e32 v39, 0x600, v33
	v_lshlrev_b64 v[37:38], 2, v[37:38]
	v_add_co_u32 v89, vcc_lo, s2, v89
	s_clause 0x7
	global_load_b128 v[1:4], v[29:30], off
	global_load_b128 v[5:8], v[29:30], off offset:16
	global_load_b128 v[9:12], v[29:30], off offset:32
	;; [unrolled: 1-line block ×7, first 2 shown]
	v_or_b32_e32 v41, 0x700, v33
	v_add_co_ci_u32_e32 v90, vcc_lo, s3, v90, vcc_lo
	v_lshlrev_b64 v[39:40], 2, v[39:40]
	v_add_co_u32 v35, vcc_lo, s2, v35
	v_or_b32_e32 v43, 0x800, v33
	v_add_co_ci_u32_e32 v36, vcc_lo, s3, v36, vcc_lo
	v_lshlrev_b64 v[41:42], 2, v[41:42]
	v_add_co_u32 v37, vcc_lo, s2, v37
	;; [unrolled: 4-line block ×4, first 2 shown]
	v_mov_b32_e32 v50, v34
	v_or_b32_e32 v49, 0xb00, v33
	v_add_co_ci_u32_e32 v42, vcc_lo, s3, v42, vcc_lo
	v_lshlrev_b64 v[47:48], 2, v[47:48]
	v_add_co_u32 v43, vcc_lo, s2, v43
	v_mov_b32_e32 v52, v34
	v_or_b32_e32 v51, 0xc00, v33
	v_add_co_ci_u32_e32 v44, vcc_lo, s3, v44, vcc_lo
	v_lshlrev_b64 v[49:50], 2, v[49:50]
	v_add_co_u32 v45, vcc_lo, s2, v45
	;; [unrolled: 5-line block ×20, first 2 shown]
	v_or_b32_e32 v33, 0x1f00, v33
	v_add_co_ci_u32_e32 v82, vcc_lo, s3, v82, vcc_lo
	v_lshlrev_b64 v[87:88], 2, v[87:88]
	v_add_co_u32 v83, vcc_lo, s2, v83
	v_add_co_ci_u32_e32 v84, vcc_lo, s3, v84, vcc_lo
	v_lshlrev_b64 v[33:34], 2, v[33:34]
	v_add_co_u32 v85, vcc_lo, s2, v85
	v_add_co_ci_u32_e32 v86, vcc_lo, s3, v86, vcc_lo
	v_add_co_u32 v87, vcc_lo, s2, v87
	v_add_co_ci_u32_e32 v88, vcc_lo, s3, v88, vcc_lo
	;; [unrolled: 2-line block ×3, first 2 shown]
	s_waitcnt vmcnt(7)
	s_clause 0x3
	global_store_b32 v[89:90], v1, off
	global_store_b32 v[89:90], v2, off offset:1024
	global_store_b32 v[89:90], v3, off offset:2048
	;; [unrolled: 1-line block ×3, first 2 shown]
	s_waitcnt vmcnt(6)
	s_clause 0x3
	global_store_b32 v[35:36], v5, off
	global_store_b32 v[37:38], v6, off
	global_store_b32 v[39:40], v7, off
	global_store_b32 v[41:42], v8, off
	s_waitcnt vmcnt(5)
	s_clause 0x3
	global_store_b32 v[43:44], v9, off
	global_store_b32 v[45:46], v10, off
	global_store_b32 v[47:48], v11, off
	global_store_b32 v[49:50], v12, off
	;; [unrolled: 6-line block ×7, first 2 shown]
	s_nop 0
	s_sendmsg sendmsg(MSG_DEALLOC_VGPRS)
	s_endpgm
	.section	.rodata,"a",@progbits
	.p2align	6, 0x0
	.amdhsa_kernel _Z16warp_load_kernelILj256ELj32ELj32ELN6hipcub17WarpLoadAlgorithmE2EiEvPT3_S3_
		.amdhsa_group_segment_fixed_size 0
		.amdhsa_private_segment_fixed_size 0
		.amdhsa_kernarg_size 16
		.amdhsa_user_sgpr_count 15
		.amdhsa_user_sgpr_dispatch_ptr 0
		.amdhsa_user_sgpr_queue_ptr 0
		.amdhsa_user_sgpr_kernarg_segment_ptr 1
		.amdhsa_user_sgpr_dispatch_id 0
		.amdhsa_user_sgpr_private_segment_size 0
		.amdhsa_wavefront_size32 1
		.amdhsa_uses_dynamic_stack 0
		.amdhsa_enable_private_segment 0
		.amdhsa_system_sgpr_workgroup_id_x 1
		.amdhsa_system_sgpr_workgroup_id_y 0
		.amdhsa_system_sgpr_workgroup_id_z 0
		.amdhsa_system_sgpr_workgroup_info 0
		.amdhsa_system_vgpr_workitem_id 0
		.amdhsa_next_free_vgpr 91
		.amdhsa_next_free_sgpr 16
		.amdhsa_reserve_vcc 1
		.amdhsa_float_round_mode_32 0
		.amdhsa_float_round_mode_16_64 0
		.amdhsa_float_denorm_mode_32 3
		.amdhsa_float_denorm_mode_16_64 3
		.amdhsa_dx10_clamp 1
		.amdhsa_ieee_mode 1
		.amdhsa_fp16_overflow 0
		.amdhsa_workgroup_processor_mode 1
		.amdhsa_memory_ordered 1
		.amdhsa_forward_progress 0
		.amdhsa_shared_vgpr_count 0
		.amdhsa_exception_fp_ieee_invalid_op 0
		.amdhsa_exception_fp_denorm_src 0
		.amdhsa_exception_fp_ieee_div_zero 0
		.amdhsa_exception_fp_ieee_overflow 0
		.amdhsa_exception_fp_ieee_underflow 0
		.amdhsa_exception_fp_ieee_inexact 0
		.amdhsa_exception_int_div_zero 0
	.end_amdhsa_kernel
	.section	.text._Z16warp_load_kernelILj256ELj32ELj32ELN6hipcub17WarpLoadAlgorithmE2EiEvPT3_S3_,"axG",@progbits,_Z16warp_load_kernelILj256ELj32ELj32ELN6hipcub17WarpLoadAlgorithmE2EiEvPT3_S3_,comdat
.Lfunc_end14:
	.size	_Z16warp_load_kernelILj256ELj32ELj32ELN6hipcub17WarpLoadAlgorithmE2EiEvPT3_S3_, .Lfunc_end14-_Z16warp_load_kernelILj256ELj32ELj32ELN6hipcub17WarpLoadAlgorithmE2EiEvPT3_S3_
                                        ; -- End function
	.section	.AMDGPU.csdata,"",@progbits
; Kernel info:
; codeLenInByte = 1408
; NumSgprs: 18
; NumVgprs: 91
; ScratchSize: 0
; MemoryBound: 0
; FloatMode: 240
; IeeeMode: 1
; LDSByteSize: 0 bytes/workgroup (compile time only)
; SGPRBlocks: 2
; VGPRBlocks: 11
; NumSGPRsForWavesPerEU: 18
; NumVGPRsForWavesPerEU: 91
; Occupancy: 16
; WaveLimiterHint : 1
; COMPUTE_PGM_RSRC2:SCRATCH_EN: 0
; COMPUTE_PGM_RSRC2:USER_SGPR: 15
; COMPUTE_PGM_RSRC2:TRAP_HANDLER: 0
; COMPUTE_PGM_RSRC2:TGID_X_EN: 1
; COMPUTE_PGM_RSRC2:TGID_Y_EN: 0
; COMPUTE_PGM_RSRC2:TGID_Z_EN: 0
; COMPUTE_PGM_RSRC2:TIDIG_COMP_CNT: 0
	.section	.text._Z16warp_load_kernelILj256ELj32ELj32ELN6hipcub17WarpLoadAlgorithmE3EiEvPT3_S3_,"axG",@progbits,_Z16warp_load_kernelILj256ELj32ELj32ELN6hipcub17WarpLoadAlgorithmE3EiEvPT3_S3_,comdat
	.protected	_Z16warp_load_kernelILj256ELj32ELj32ELN6hipcub17WarpLoadAlgorithmE3EiEvPT3_S3_ ; -- Begin function _Z16warp_load_kernelILj256ELj32ELj32ELN6hipcub17WarpLoadAlgorithmE3EiEvPT3_S3_
	.globl	_Z16warp_load_kernelILj256ELj32ELj32ELN6hipcub17WarpLoadAlgorithmE3EiEvPT3_S3_
	.p2align	8
	.type	_Z16warp_load_kernelILj256ELj32ELj32ELN6hipcub17WarpLoadAlgorithmE3EiEvPT3_S3_,@function
_Z16warp_load_kernelILj256ELj32ELj32ELN6hipcub17WarpLoadAlgorithmE3EiEvPT3_S3_: ; @_Z16warp_load_kernelILj256ELj32ELj32ELN6hipcub17WarpLoadAlgorithmE3EiEvPT3_S3_
; %bb.0:
	s_load_b128 s[0:3], s[0:1], 0x0
	v_lshrrev_b32_e32 v5, 5, v0
	s_lshl_b32 s4, s15, 13
	v_mbcnt_lo_u32_b32 v7, -1, 0
	v_mov_b32_e32 v2, 0
	s_delay_alu instid0(VALU_DEP_3) | instskip(NEXT) | instid1(VALU_DEP_1)
	v_lshl_or_b32 v1, v5, 10, s4
	v_lshlrev_b64 v[3:4], 2, v[1:2]
	s_delay_alu instid0(VALU_DEP_4)
	v_dual_mov_b32 v8, v2 :: v_dual_lshlrev_b32 v1, 2, v7
	v_mov_b32_e32 v10, v2
	v_mov_b32_e32 v12, v2
	;; [unrolled: 1-line block ×6, first 2 shown]
	s_waitcnt lgkmcnt(0)
	v_add_co_u32 v3, vcc_lo, s0, v3
	v_add_co_ci_u32_e32 v4, vcc_lo, s1, v4, vcc_lo
	v_mov_b32_e32 v22, v2
	s_delay_alu instid0(VALU_DEP_3) | instskip(NEXT) | instid1(VALU_DEP_3)
	v_add_co_u32 v3, vcc_lo, v3, v1
	v_add_co_ci_u32_e32 v4, vcc_lo, 0, v4, vcc_lo
	v_mov_b32_e32 v24, v2
	v_mov_b32_e32 v26, v2
	;; [unrolled: 1-line block ×3, first 2 shown]
	s_clause 0x1f
	global_load_b32 v91, v[3:4], off
	global_load_b32 v92, v[3:4], off offset:128
	global_load_b32 v93, v[3:4], off offset:256
	;; [unrolled: 1-line block ×31, first 2 shown]
	v_dual_mov_b32 v4, v2 :: v_dual_lshlrev_b32 v3, 12, v5
	v_mov_b32_e32 v30, v2
	v_mov_b32_e32 v32, v2
	;; [unrolled: 1-line block ×4, first 2 shown]
	v_or_b32_e32 v123, v3, v1
	v_or_b32_e32 v1, s4, v0
	v_lshl_or_b32 v124, v7, 7, v3
	v_mov_b32_e32 v6, v2
	s_delay_alu instid0(VALU_DEP_4) | instskip(NEXT) | instid1(VALU_DEP_4)
	v_dual_mov_b32 v38, v2 :: v_dual_add_nc_u32 v125, 0x800, v123
	v_or_b32_e32 v3, 0x400, v1
	v_lshlrev_b64 v[57:58], 2, v[1:2]
	v_or_b32_e32 v5, 0x500, v1
	v_or_b32_e32 v7, 0x600, v1
	;; [unrolled: 1-line block ×3, first 2 shown]
	v_lshlrev_b64 v[3:4], 2, v[3:4]
	v_or_b32_e32 v11, 0x800, v1
	v_lshlrev_b64 v[5:6], 2, v[5:6]
	v_add_co_u32 v57, vcc_lo, s2, v57
	v_add_co_ci_u32_e32 v58, vcc_lo, s3, v58, vcc_lo
	v_lshlrev_b64 v[7:8], 2, v[7:8]
	v_add_co_u32 v61, vcc_lo, s2, v3
	v_add_co_ci_u32_e32 v62, vcc_lo, s3, v4, vcc_lo
	v_lshlrev_b64 v[9:10], 2, v[9:10]
	v_add_co_u32 v63, vcc_lo, s2, v5
	v_or_b32_e32 v13, 0x900, v1
	v_add_co_ci_u32_e32 v64, vcc_lo, s3, v6, vcc_lo
	v_lshlrev_b64 v[11:12], 2, v[11:12]
	v_add_co_u32 v65, vcc_lo, s2, v7
	v_or_b32_e32 v15, 0xa00, v1
	;; [unrolled: 4-line block ×13, first 2 shown]
	v_add_co_ci_u32_e32 v88, vcc_lo, s3, v30, vcc_lo
	v_lshlrev_b64 v[35:36], 2, v[35:36]
	v_add_co_u32 v89, vcc_lo, s2, v31
	v_mov_b32_e32 v40, v2
	v_or_b32_e32 v39, 0x1600, v1
	v_add_co_ci_u32_e32 v90, vcc_lo, s3, v32, vcc_lo
	v_lshlrev_b64 v[37:38], 2, v[37:38]
	v_add_co_u32 v32, vcc_lo, s2, v33
	v_mov_b32_e32 v42, v2
	v_or_b32_e32 v41, 0x1700, v1
	;; [unrolled: 5-line block ×6, first 2 shown]
	v_or_b32_e32 v51, 0x1c00, v1
	v_or_b32_e32 v53, 0x1d00, v1
	;; [unrolled: 1-line block ×4, first 2 shown]
	v_add_co_ci_u32_e32 v41, vcc_lo, s3, v42, vcc_lo
	v_lshlrev_b64 v[47:48], 2, v[47:48]
	v_add_co_u32 v42, vcc_lo, s2, v43
	v_mov_b32_e32 v52, v2
	v_add_nc_u32_e32 v0, 0x400, v123
	v_add_co_ci_u32_e32 v43, vcc_lo, s3, v44, vcc_lo
	v_mov_b32_e32 v54, v2
	v_mov_b32_e32 v56, v2
	v_add_nc_u32_e32 v126, 0xc00, v123
	v_lshlrev_b64 v[49:50], 2, v[49:50]
	v_lshlrev_b64 v[59:60], 2, v[1:2]
	v_add_co_u32 v44, vcc_lo, s2, v45
	v_add_co_ci_u32_e32 v45, vcc_lo, s3, v46, vcc_lo
	v_lshlrev_b64 v[51:52], 2, v[51:52]
	v_add_co_u32 v46, vcc_lo, s2, v47
	v_add_co_ci_u32_e32 v47, vcc_lo, s3, v48, vcc_lo
	;; [unrolled: 3-line block ×4, first 2 shown]
	v_add_co_u32 v52, vcc_lo, s2, v53
	v_add_co_ci_u32_e32 v53, vcc_lo, s3, v54, vcc_lo
	v_add_co_u32 v54, vcc_lo, s2, v55
	v_add_co_ci_u32_e32 v55, vcc_lo, s3, v56, vcc_lo
	;; [unrolled: 2-line block ×3, first 2 shown]
	s_waitcnt vmcnt(30)
	ds_store_2addr_b32 v123, v91, v92 offset1:32
	s_waitcnt vmcnt(28)
	ds_store_2addr_b32 v123, v93, v94 offset0:64 offset1:96
	s_waitcnt vmcnt(26)
	ds_store_2addr_b32 v123, v95, v96 offset0:128 offset1:160
	s_waitcnt vmcnt(24)
	ds_store_2addr_b32 v123, v97, v98 offset0:192 offset1:224
	s_waitcnt vmcnt(22)
	ds_store_2addr_b32 v0, v99, v100 offset1:32
	s_waitcnt vmcnt(20)
	ds_store_2addr_b32 v0, v101, v102 offset0:64 offset1:96
	s_waitcnt vmcnt(18)
	ds_store_2addr_b32 v0, v103, v104 offset0:128 offset1:160
	s_waitcnt vmcnt(16)
	ds_store_2addr_b32 v0, v105, v106 offset0:192 offset1:224
	;; [unrolled: 8-line block ×4, first 2 shown]
	; wave barrier
	ds_load_b128 v[0:3], v124
	ds_load_b128 v[4:7], v124 offset:16
	ds_load_b128 v[8:11], v124 offset:32
	;; [unrolled: 1-line block ×7, first 2 shown]
	s_waitcnt lgkmcnt(7)
	s_clause 0x3
	global_store_b32 v[57:58], v0, off
	global_store_b32 v[57:58], v1, off offset:1024
	global_store_b32 v[57:58], v2, off offset:2048
	global_store_b32 v[57:58], v3, off offset:3072
	s_waitcnt lgkmcnt(6)
	s_clause 0x3
	global_store_b32 v[61:62], v4, off
	global_store_b32 v[63:64], v5, off
	global_store_b32 v[65:66], v6, off
	global_store_b32 v[67:68], v7, off
	s_waitcnt lgkmcnt(5)
	s_clause 0x3
	global_store_b32 v[69:70], v8, off
	global_store_b32 v[71:72], v9, off
	global_store_b32 v[73:74], v10, off
	global_store_b32 v[75:76], v11, off
	;; [unrolled: 6-line block ×7, first 2 shown]
	s_nop 0
	s_sendmsg sendmsg(MSG_DEALLOC_VGPRS)
	s_endpgm
	.section	.rodata,"a",@progbits
	.p2align	6, 0x0
	.amdhsa_kernel _Z16warp_load_kernelILj256ELj32ELj32ELN6hipcub17WarpLoadAlgorithmE3EiEvPT3_S3_
		.amdhsa_group_segment_fixed_size 32768
		.amdhsa_private_segment_fixed_size 0
		.amdhsa_kernarg_size 16
		.amdhsa_user_sgpr_count 15
		.amdhsa_user_sgpr_dispatch_ptr 0
		.amdhsa_user_sgpr_queue_ptr 0
		.amdhsa_user_sgpr_kernarg_segment_ptr 1
		.amdhsa_user_sgpr_dispatch_id 0
		.amdhsa_user_sgpr_private_segment_size 0
		.amdhsa_wavefront_size32 1
		.amdhsa_uses_dynamic_stack 0
		.amdhsa_enable_private_segment 0
		.amdhsa_system_sgpr_workgroup_id_x 1
		.amdhsa_system_sgpr_workgroup_id_y 0
		.amdhsa_system_sgpr_workgroup_id_z 0
		.amdhsa_system_sgpr_workgroup_info 0
		.amdhsa_system_vgpr_workitem_id 0
		.amdhsa_next_free_vgpr 127
		.amdhsa_next_free_sgpr 16
		.amdhsa_reserve_vcc 1
		.amdhsa_float_round_mode_32 0
		.amdhsa_float_round_mode_16_64 0
		.amdhsa_float_denorm_mode_32 3
		.amdhsa_float_denorm_mode_16_64 3
		.amdhsa_dx10_clamp 1
		.amdhsa_ieee_mode 1
		.amdhsa_fp16_overflow 0
		.amdhsa_workgroup_processor_mode 1
		.amdhsa_memory_ordered 1
		.amdhsa_forward_progress 0
		.amdhsa_shared_vgpr_count 0
		.amdhsa_exception_fp_ieee_invalid_op 0
		.amdhsa_exception_fp_denorm_src 0
		.amdhsa_exception_fp_ieee_div_zero 0
		.amdhsa_exception_fp_ieee_overflow 0
		.amdhsa_exception_fp_ieee_underflow 0
		.amdhsa_exception_fp_ieee_inexact 0
		.amdhsa_exception_int_div_zero 0
	.end_amdhsa_kernel
	.section	.text._Z16warp_load_kernelILj256ELj32ELj32ELN6hipcub17WarpLoadAlgorithmE3EiEvPT3_S3_,"axG",@progbits,_Z16warp_load_kernelILj256ELj32ELj32ELN6hipcub17WarpLoadAlgorithmE3EiEvPT3_S3_,comdat
.Lfunc_end15:
	.size	_Z16warp_load_kernelILj256ELj32ELj32ELN6hipcub17WarpLoadAlgorithmE3EiEvPT3_S3_, .Lfunc_end15-_Z16warp_load_kernelILj256ELj32ELj32ELN6hipcub17WarpLoadAlgorithmE3EiEvPT3_S3_
                                        ; -- End function
	.section	.AMDGPU.csdata,"",@progbits
; Kernel info:
; codeLenInByte = 1896
; NumSgprs: 18
; NumVgprs: 127
; ScratchSize: 0
; MemoryBound: 1
; FloatMode: 240
; IeeeMode: 1
; LDSByteSize: 32768 bytes/workgroup (compile time only)
; SGPRBlocks: 2
; VGPRBlocks: 15
; NumSGPRsForWavesPerEU: 18
; NumVGPRsForWavesPerEU: 127
; Occupancy: 8
; WaveLimiterHint : 1
; COMPUTE_PGM_RSRC2:SCRATCH_EN: 0
; COMPUTE_PGM_RSRC2:USER_SGPR: 15
; COMPUTE_PGM_RSRC2:TRAP_HANDLER: 0
; COMPUTE_PGM_RSRC2:TGID_X_EN: 1
; COMPUTE_PGM_RSRC2:TGID_Y_EN: 0
; COMPUTE_PGM_RSRC2:TGID_Z_EN: 0
; COMPUTE_PGM_RSRC2:TIDIG_COMP_CNT: 0
	.section	.text._Z16warp_load_kernelILj256ELj64ELj32ELN6hipcub17WarpLoadAlgorithmE0EiEvPT3_S3_,"axG",@progbits,_Z16warp_load_kernelILj256ELj64ELj32ELN6hipcub17WarpLoadAlgorithmE0EiEvPT3_S3_,comdat
	.protected	_Z16warp_load_kernelILj256ELj64ELj32ELN6hipcub17WarpLoadAlgorithmE0EiEvPT3_S3_ ; -- Begin function _Z16warp_load_kernelILj256ELj64ELj32ELN6hipcub17WarpLoadAlgorithmE0EiEvPT3_S3_
	.globl	_Z16warp_load_kernelILj256ELj64ELj32ELN6hipcub17WarpLoadAlgorithmE0EiEvPT3_S3_
	.p2align	8
	.type	_Z16warp_load_kernelILj256ELj64ELj32ELN6hipcub17WarpLoadAlgorithmE0EiEvPT3_S3_,@function
_Z16warp_load_kernelILj256ELj64ELj32ELN6hipcub17WarpLoadAlgorithmE0EiEvPT3_S3_: ; @_Z16warp_load_kernelILj256ELj64ELj32ELN6hipcub17WarpLoadAlgorithmE0EiEvPT3_S3_
; %bb.0:
	s_load_b128 s[0:3], s[0:1], 0x0
	v_mov_b32_e32 v45, 0
	v_lshlrev_b32_e32 v1, 6, v0
	s_lshl_b32 s4, s15, 14
	v_mbcnt_lo_u32_b32 v3, -1, 0
	s_delay_alu instid0(VALU_DEP_3) | instskip(NEXT) | instid1(VALU_DEP_3)
	v_mov_b32_e32 v70, v45
	v_and_or_b32 v44, 0x3800, v1, s4
	s_delay_alu instid0(VALU_DEP_3) | instskip(SKIP_2) | instid1(VALU_DEP_4)
	v_dual_mov_b32 v72, v45 :: v_dual_lshlrev_b32 v3, 8, v3
	v_mov_b32_e32 v67, v45
	v_mov_b32_e32 v69, v45
	v_lshlrev_b64 v[1:2], 2, v[44:45]
	v_or_b32_e32 v44, s4, v0
	v_mov_b32_e32 v74, v45
	v_mov_b32_e32 v76, v45
	;; [unrolled: 1-line block ×4, first 2 shown]
	v_or_b32_e32 v0, 0x400, v44
	v_lshlrev_b64 v[4:5], 2, v[44:45]
	s_waitcnt lgkmcnt(0)
	v_add_co_u32 v1, vcc_lo, s0, v1
	v_add_co_ci_u32_e32 v2, vcc_lo, s1, v2, vcc_lo
	v_or_b32_e32 v66, 0x600, v44
	s_delay_alu instid0(VALU_DEP_3) | instskip(NEXT) | instid1(VALU_DEP_3)
	v_add_co_u32 v12, vcc_lo, v1, v3
	v_add_co_ci_u32_e32 v13, vcc_lo, 0, v2, vcc_lo
	v_mov_b32_e32 v1, v45
	v_mov_b32_e32 v3, v45
	v_or_b32_e32 v2, 0x500, v44
	s_clause 0x9
	global_load_b128 v[46:49], v[12:13], off
	global_load_b128 v[50:53], v[12:13], off offset:16
	global_load_b128 v[54:57], v[12:13], off offset:32
	;; [unrolled: 1-line block ×9, first 2 shown]
	v_add_co_u32 v86, vcc_lo, s2, v4
	v_lshlrev_b64 v[0:1], 2, v[0:1]
	v_add_co_ci_u32_e32 v87, vcc_lo, s3, v5, vcc_lo
	v_lshlrev_b64 v[84:85], 2, v[2:3]
	v_or_b32_e32 v68, 0x700, v44
	v_lshlrev_b64 v[66:67], 2, v[66:67]
	v_add_co_u32 v88, vcc_lo, s2, v0
	v_add_co_ci_u32_e32 v89, vcc_lo, s3, v1, vcc_lo
	s_clause 0x5
	global_load_b128 v[36:39], v[12:13], off offset:176
	global_load_b128 v[40:43], v[12:13], off offset:160
	;; [unrolled: 1-line block ×6, first 2 shown]
	v_lshlrev_b64 v[68:69], 2, v[68:69]
	v_add_co_u32 v84, vcc_lo, s2, v84
	v_add_co_ci_u32_e32 v85, vcc_lo, s3, v85, vcc_lo
	v_add_co_u32 v66, vcc_lo, s2, v66
	v_add_co_ci_u32_e32 v67, vcc_lo, s3, v67, vcc_lo
	v_add_co_u32 v68, vcc_lo, s2, v68
	v_add_co_ci_u32_e32 v69, vcc_lo, s3, v69, vcc_lo
	v_or_b32_e32 v71, 0x900, v44
	v_or_b32_e32 v73, 0xa00, v44
	;; [unrolled: 1-line block ×4, first 2 shown]
	v_mov_b32_e32 v81, v45
	v_lshlrev_b64 v[71:72], 2, v[71:72]
	v_lshlrev_b64 v[73:74], 2, v[73:74]
	;; [unrolled: 1-line block ×4, first 2 shown]
	v_or_b32_e32 v80, 0xe00, v44
	v_mov_b32_e32 v83, v45
	v_or_b32_e32 v82, 0xf00, v44
	v_mov_b32_e32 v91, v45
	v_or_b32_e32 v90, 0x2800, v44
	v_mov_b32_e32 v93, v45
	v_or_b32_e32 v92, 0x2900, v44
	v_mov_b32_e32 v94, v45
	s_waitcnt vmcnt(15)
	s_clause 0x3
	global_store_b32 v[86:87], v46, off
	global_store_b32 v[86:87], v47, off offset:1024
	global_store_b32 v[86:87], v48, off offset:2048
	global_store_b32 v[86:87], v49, off offset:3072
	s_waitcnt vmcnt(14)
	s_clause 0x1
	global_store_b32 v[84:85], v51, off
	global_store_b32 v[68:69], v53, off
	v_or_b32_e32 v69, 0x800, v44
	v_mov_b32_e32 v47, v45
	v_or_b32_e32 v46, 0x1000, v44
	v_mov_b32_e32 v49, v45
	v_or_b32_e32 v48, 0x1100, v44
	v_lshlrev_b64 v[69:70], 2, v[69:70]
	v_mov_b32_e32 v86, v45
	v_lshlrev_b64 v[46:47], 2, v[46:47]
	v_or_b32_e32 v87, 0x1300, v44
	v_lshlrev_b64 v[48:49], 2, v[48:49]
	v_mov_b32_e32 v51, v45
	v_add_co_u32 v69, vcc_lo, s2, v69
	v_add_co_ci_u32_e32 v70, vcc_lo, s3, v70, vcc_lo
	v_add_co_u32 v71, vcc_lo, s2, v71
	v_add_co_ci_u32_e32 v72, vcc_lo, s3, v72, vcc_lo
	;; [unrolled: 2-line block ×5, first 2 shown]
	v_or_b32_e32 v78, 0xd00, v44
	s_waitcnt vmcnt(13)
	global_store_b32 v[71:72], v55, off
	v_mov_b32_e32 v68, v45
	v_mov_b32_e32 v77, v45
	v_or_b32_e32 v53, 0x1900, v44
	v_lshlrev_b64 v[71:72], 2, v[78:79]
	v_lshlrev_b64 v[78:79], 2, v[80:81]
	;; [unrolled: 1-line block ×3, first 2 shown]
	v_or_b32_e32 v55, 0x1b00, v44
	v_mov_b32_e32 v82, v45
	v_or_b32_e32 v83, 0x2000, v44
	v_add_co_u32 v71, vcc_lo, s2, v71
	v_add_co_ci_u32_e32 v72, vcc_lo, s3, v72, vcc_lo
	v_add_co_u32 v78, vcc_lo, s2, v78
	v_add_co_ci_u32_e32 v79, vcc_lo, s3, v79, vcc_lo
	;; [unrolled: 2-line block ×3, first 2 shown]
	global_store_b32 v[73:74], v56, off
	v_add_co_u32 v46, vcc_lo, s2, v46
	s_waitcnt vmcnt(12)
	global_store_b32 v[80:81], v61, off
	v_add_co_ci_u32_e32 v47, vcc_lo, s3, v47, vcc_lo
	v_add_co_u32 v48, vcc_lo, s2, v48
	s_clause 0x3
	global_store_b32 v[69:70], v54, off
	global_store_b32 v[71:72], v59, off
	;; [unrolled: 1-line block ×4, first 2 shown]
	v_or_b32_e32 v85, 0x1200, v44
	v_add_co_ci_u32_e32 v49, vcc_lo, s3, v49, vcc_lo
	s_waitcnt vmcnt(11)
	s_clause 0x2
	global_store_b32 v[46:47], v62, off
	global_store_b32 v[66:67], v52, off
	;; [unrolled: 1-line block ×3, first 2 shown]
	v_mov_b32_e32 v88, v45
	v_lshlrev_b64 v[71:72], 2, v[85:86]
	v_or_b32_e32 v50, 0x1400, v44
	v_mov_b32_e32 v52, v45
	v_mov_b32_e32 v66, v45
	v_lshlrev_b64 v[80:81], 2, v[87:88]
	global_store_b32 v[48:49], v63, off
	v_lshlrev_b64 v[50:51], 2, v[50:51]
	v_add_co_u32 v71, vcc_lo, s2, v71
	v_add_co_ci_u32_e32 v72, vcc_lo, s3, v72, vcc_lo
	v_add_co_u32 v80, vcc_lo, s2, v80
	v_add_co_ci_u32_e32 v81, vcc_lo, s3, v81, vcc_lo
	;; [unrolled: 2-line block ×3, first 2 shown]
	v_or_b32_e32 v51, 0x1500, v44
	s_clause 0x1
	global_store_b32 v[78:79], v60, off
	global_store_b32 v[80:81], v65, off
	s_waitcnt vmcnt(10)
	global_store_b32 v[85:86], v32, off
	v_or_b32_e32 v65, 0x1600, v44
	v_lshlrev_b64 v[51:52], 2, v[51:52]
	v_mov_b32_e32 v50, v45
	v_or_b32_e32 v67, 0x1700, v44
	v_or_b32_e32 v49, 0x2400, v44
	v_lshlrev_b64 v[65:66], 2, v[65:66]
	v_or_b32_e32 v76, 0x1800, v44
	v_mov_b32_e32 v54, v45
	v_lshlrev_b64 v[67:68], 2, v[67:68]
	v_lshlrev_b64 v[48:49], 2, v[49:50]
	v_add_co_u32 v50, vcc_lo, s2, v51
	v_add_co_ci_u32_e32 v51, vcc_lo, s3, v52, vcc_lo
	v_lshlrev_b64 v[76:77], 2, v[76:77]
	v_add_co_u32 v65, vcc_lo, s2, v65
	v_mov_b32_e32 v70, v45
	v_mov_b32_e32 v73, v45
	;; [unrolled: 1-line block ×3, first 2 shown]
	global_store_b32 v[71:72], v64, off
	v_or_b32_e32 v69, 0x1a00, v44
	v_or_b32_e32 v72, 0x1c00, v44
	;; [unrolled: 1-line block ×3, first 2 shown]
	v_add_co_ci_u32_e32 v66, vcc_lo, s3, v66, vcc_lo
	v_lshlrev_b64 v[53:54], 2, v[53:54]
	v_add_co_u32 v67, vcc_lo, s2, v67
	v_mov_b32_e32 v56, v45
	v_add_co_ci_u32_e32 v68, vcc_lo, s3, v68, vcc_lo
	v_lshlrev_b64 v[69:70], 2, v[69:70]
	v_lshlrev_b64 v[71:72], 2, v[72:73]
	v_lshlrev_b64 v[73:74], 2, v[74:75]
	v_add_co_u32 v75, vcc_lo, s2, v76
	v_add_co_ci_u32_e32 v76, vcc_lo, s3, v77, vcc_lo
	v_lshlrev_b64 v[55:56], 2, v[55:56]
	v_add_co_u32 v52, vcc_lo, s2, v53
	v_add_co_ci_u32_e32 v53, vcc_lo, s3, v54, vcc_lo
	v_add_co_u32 v69, vcc_lo, s2, v69
	v_or_b32_e32 v81, 0x1e00, v44
	v_add_co_ci_u32_e32 v70, vcc_lo, s3, v70, vcc_lo
	v_add_co_u32 v54, vcc_lo, s2, v55
	v_mov_b32_e32 v58, v45
	v_or_b32_e32 v57, 0x1f00, v44
	v_add_co_ci_u32_e32 v55, vcc_lo, s3, v56, vcc_lo
	v_lshlrev_b64 v[80:81], 2, v[81:82]
	v_add_co_u32 v71, vcc_lo, s2, v71
	v_mov_b32_e32 v84, v45
	v_add_co_ci_u32_e32 v72, vcc_lo, s3, v72, vcc_lo
	v_lshlrev_b64 v[57:58], 2, v[57:58]
	v_add_co_u32 v73, vcc_lo, s2, v73
	v_mov_b32_e32 v60, v45
	v_or_b32_e32 v59, 0x2100, v44
	v_add_co_ci_u32_e32 v74, vcc_lo, s3, v74, vcc_lo
	v_lshlrev_b64 v[82:83], 2, v[83:84]
	v_add_co_u32 v80, vcc_lo, s2, v80
	v_mov_b32_e32 v79, v45
	v_or_b32_e32 v78, 0x2200, v44
	;; [unrolled: 5-line block ×3, first 2 shown]
	v_add_co_ci_u32_e32 v57, vcc_lo, s3, v58, vcc_lo
	v_lshlrev_b64 v[78:79], 2, v[78:79]
	v_add_co_u32 v82, vcc_lo, s2, v82
	v_add_co_ci_u32_e32 v83, vcc_lo, s3, v83, vcc_lo
	v_lshlrev_b64 v[87:88], 2, v[88:89]
	v_add_co_u32 v58, vcc_lo, s2, v59
	v_mov_b32_e32 v47, v45
	v_or_b32_e32 v46, 0x2500, v44
	v_add_co_ci_u32_e32 v59, vcc_lo, s3, v60, vcc_lo
	v_add_co_u32 v77, vcc_lo, s2, v78
	v_mov_b32_e32 v62, v45
	v_or_b32_e32 v61, 0x2600, v44
	v_add_co_ci_u32_e32 v78, vcc_lo, s3, v79, vcc_lo
	v_lshlrev_b64 v[46:47], 2, v[46:47]
	v_add_co_u32 v87, vcc_lo, s2, v87
	v_mov_b32_e32 v64, v45
	v_or_b32_e32 v63, 0x2700, v44
	v_add_co_ci_u32_e32 v88, vcc_lo, s3, v88, vcc_lo
	v_lshlrev_b64 v[61:62], 2, v[61:62]
	v_add_co_u32 v48, vcc_lo, s2, v48
	v_add_co_ci_u32_e32 v49, vcc_lo, s3, v49, vcc_lo
	v_lshlrev_b64 v[63:64], 2, v[63:64]
	v_add_co_u32 v46, vcc_lo, s2, v46
	;; [unrolled: 3-line block ×3, first 2 shown]
	v_lshlrev_b64 v[91:92], 2, v[92:93]
	v_or_b32_e32 v93, 0x2a00, v44
	v_add_co_ci_u32_e32 v61, vcc_lo, s3, v62, vcc_lo
	v_add_co_u32 v62, vcc_lo, s2, v63
	v_mov_b32_e32 v85, v45
	v_or_b32_e32 v84, 0x2b00, v44
	v_add_co_ci_u32_e32 v63, vcc_lo, s3, v64, vcc_lo
	v_add_co_u32 v89, vcc_lo, s2, v89
	v_lshlrev_b64 v[93:94], 2, v[93:94]
	s_clause 0x2
	global_store_b32 v[50:51], v33, off
	global_store_b32 v[65:66], v34, off
	global_store_b32 v[67:68], v35, off
	s_waitcnt vmcnt(9)
	s_clause 0x3
	global_store_b32 v[75:76], v28, off
	global_store_b32 v[52:53], v29, off
	global_store_b32 v[69:70], v30, off
	global_store_b32 v[54:55], v31, off
	s_waitcnt vmcnt(8)
	s_clause 0x3
	global_store_b32 v[71:72], v20, off
	;; [unrolled: 6-line block ×3, first 2 shown]
	global_store_b32 v[58:59], v25, off
	global_store_b32 v[77:78], v26, off
	;; [unrolled: 1-line block ×7, first 2 shown]
	v_or_b32_e32 v16, 0x2c00, v44
	v_mov_b32_e32 v17, v45
	v_add_co_ci_u32_e32 v90, vcc_lo, s3, v90, vcc_lo
	v_add_co_u32 v91, vcc_lo, s2, v91
	v_lshlrev_b64 v[84:85], 2, v[84:85]
	v_or_b32_e32 v20, 0x2d00, v44
	v_mov_b32_e32 v21, v45
	v_add_co_ci_u32_e32 v92, vcc_lo, s3, v92, vcc_lo
	v_add_co_u32 v18, vcc_lo, s2, v93
	v_lshlrev_b64 v[16:17], 2, v[16:17]
	;; [unrolled: 5-line block ×4, first 2 shown]
	v_add_co_ci_u32_e32 v17, vcc_lo, s3, v17, vcc_lo
	v_add_co_u32 v20, vcc_lo, s2, v20
	v_lshlrev_b64 v[26:27], 2, v[26:27]
	v_add_co_ci_u32_e32 v21, vcc_lo, s3, v21, vcc_lo
	v_or_b32_e32 v28, 0x3000, v44
	v_mov_b32_e32 v29, v45
	v_add_co_u32 v24, vcc_lo, s2, v24
	v_add_co_ci_u32_e32 v25, vcc_lo, s3, v25, vcc_lo
	v_or_b32_e32 v30, 0x3100, v44
	v_mov_b32_e32 v31, v45
	v_add_co_u32 v26, vcc_lo, s2, v26
	v_lshlrev_b64 v[28:29], 2, v[28:29]
	v_add_co_ci_u32_e32 v27, vcc_lo, s3, v27, vcc_lo
	s_waitcnt vmcnt(4)
	s_clause 0x7
	global_store_b32 v[89:90], v40, off
	global_store_b32 v[91:92], v41, off
	;; [unrolled: 1-line block ×8, first 2 shown]
	v_or_b32_e32 v18, 0x3200, v44
	v_mov_b32_e32 v19, v45
	v_lshlrev_b64 v[16:17], 2, v[30:31]
	v_or_b32_e32 v22, 0x3300, v44
	v_mov_b32_e32 v23, v45
	v_add_co_u32 v20, vcc_lo, s2, v28
	v_lshlrev_b64 v[18:19], 2, v[18:19]
	v_or_b32_e32 v24, 0x3400, v44
	v_mov_b32_e32 v25, v45
	v_add_co_ci_u32_e32 v21, vcc_lo, s3, v29, vcc_lo
	v_add_co_u32 v16, vcc_lo, s2, v16
	v_lshlrev_b64 v[22:23], 2, v[22:23]
	v_or_b32_e32 v26, 0x3500, v44
	v_mov_b32_e32 v27, v45
	v_add_co_ci_u32_e32 v17, vcc_lo, s3, v17, vcc_lo
	;; [unrolled: 5-line block ×3, first 2 shown]
	v_add_co_u32 v22, vcc_lo, s2, v22
	v_lshlrev_b64 v[26:27], 2, v[26:27]
	v_or_b32_e32 v30, 0x3700, v44
	v_add_co_ci_u32_e32 v23, vcc_lo, s3, v23, vcc_lo
	v_add_co_u32 v24, vcc_lo, s2, v24
	v_lshlrev_b64 v[28:29], 2, v[28:29]
	v_add_co_ci_u32_e32 v25, vcc_lo, s3, v25, vcc_lo
	v_add_co_u32 v26, vcc_lo, s2, v26
	v_lshlrev_b64 v[30:31], 2, v[30:31]
	v_add_co_ci_u32_e32 v27, vcc_lo, s3, v27, vcc_lo
	v_or_b32_e32 v32, 0x3800, v44
	v_mov_b32_e32 v33, v45
	v_add_co_u32 v28, vcc_lo, s2, v28
	v_add_co_ci_u32_e32 v29, vcc_lo, s3, v29, vcc_lo
	v_or_b32_e32 v34, 0x3900, v44
	v_mov_b32_e32 v35, v45
	v_add_co_u32 v30, vcc_lo, s2, v30
	v_lshlrev_b64 v[32:33], 2, v[32:33]
	v_add_co_ci_u32_e32 v31, vcc_lo, s3, v31, vcc_lo
	s_waitcnt vmcnt(0)
	s_clause 0x7
	global_store_b32 v[20:21], v12, off
	global_store_b32 v[16:17], v13, off
	;; [unrolled: 1-line block ×8, first 2 shown]
	v_or_b32_e32 v10, 0x3a00, v44
	v_mov_b32_e32 v11, v45
	v_lshlrev_b64 v[8:9], 2, v[34:35]
	v_or_b32_e32 v14, 0x3b00, v44
	v_mov_b32_e32 v15, v45
	v_add_co_u32 v12, vcc_lo, s2, v32
	v_lshlrev_b64 v[10:11], 2, v[10:11]
	v_or_b32_e32 v16, 0x3c00, v44
	v_mov_b32_e32 v17, v45
	v_add_co_ci_u32_e32 v13, vcc_lo, s3, v33, vcc_lo
	v_add_co_u32 v8, vcc_lo, s2, v8
	v_lshlrev_b64 v[14:15], 2, v[14:15]
	v_or_b32_e32 v18, 0x3d00, v44
	v_mov_b32_e32 v19, v45
	v_add_co_ci_u32_e32 v9, vcc_lo, s3, v9, vcc_lo
	;; [unrolled: 5-line block ×3, first 2 shown]
	v_add_co_u32 v14, vcc_lo, s2, v14
	v_lshlrev_b64 v[18:19], 2, v[18:19]
	v_or_b32_e32 v44, 0x3f00, v44
	v_add_co_ci_u32_e32 v15, vcc_lo, s3, v15, vcc_lo
	v_add_co_u32 v16, vcc_lo, s2, v16
	v_lshlrev_b64 v[20:21], 2, v[20:21]
	v_add_co_ci_u32_e32 v17, vcc_lo, s3, v17, vcc_lo
	v_add_co_u32 v18, vcc_lo, s2, v18
	v_lshlrev_b64 v[22:23], 2, v[44:45]
	v_add_co_ci_u32_e32 v19, vcc_lo, s3, v19, vcc_lo
	v_add_co_u32 v20, vcc_lo, s2, v20
	v_add_co_ci_u32_e32 v21, vcc_lo, s3, v21, vcc_lo
	s_delay_alu instid0(VALU_DEP_4)
	v_add_co_u32 v22, vcc_lo, s2, v22
	v_add_co_ci_u32_e32 v23, vcc_lo, s3, v23, vcc_lo
	s_clause 0x7
	global_store_b32 v[12:13], v4, off
	global_store_b32 v[8:9], v5, off
	;; [unrolled: 1-line block ×8, first 2 shown]
	s_nop 0
	s_sendmsg sendmsg(MSG_DEALLOC_VGPRS)
	s_endpgm
	.section	.rodata,"a",@progbits
	.p2align	6, 0x0
	.amdhsa_kernel _Z16warp_load_kernelILj256ELj64ELj32ELN6hipcub17WarpLoadAlgorithmE0EiEvPT3_S3_
		.amdhsa_group_segment_fixed_size 0
		.amdhsa_private_segment_fixed_size 0
		.amdhsa_kernarg_size 16
		.amdhsa_user_sgpr_count 15
		.amdhsa_user_sgpr_dispatch_ptr 0
		.amdhsa_user_sgpr_queue_ptr 0
		.amdhsa_user_sgpr_kernarg_segment_ptr 1
		.amdhsa_user_sgpr_dispatch_id 0
		.amdhsa_user_sgpr_private_segment_size 0
		.amdhsa_wavefront_size32 1
		.amdhsa_uses_dynamic_stack 0
		.amdhsa_enable_private_segment 0
		.amdhsa_system_sgpr_workgroup_id_x 1
		.amdhsa_system_sgpr_workgroup_id_y 0
		.amdhsa_system_sgpr_workgroup_id_z 0
		.amdhsa_system_sgpr_workgroup_info 0
		.amdhsa_system_vgpr_workitem_id 0
		.amdhsa_next_free_vgpr 95
		.amdhsa_next_free_sgpr 16
		.amdhsa_reserve_vcc 1
		.amdhsa_float_round_mode_32 0
		.amdhsa_float_round_mode_16_64 0
		.amdhsa_float_denorm_mode_32 3
		.amdhsa_float_denorm_mode_16_64 3
		.amdhsa_dx10_clamp 1
		.amdhsa_ieee_mode 1
		.amdhsa_fp16_overflow 0
		.amdhsa_workgroup_processor_mode 1
		.amdhsa_memory_ordered 1
		.amdhsa_forward_progress 0
		.amdhsa_shared_vgpr_count 0
		.amdhsa_exception_fp_ieee_invalid_op 0
		.amdhsa_exception_fp_denorm_src 0
		.amdhsa_exception_fp_ieee_div_zero 0
		.amdhsa_exception_fp_ieee_overflow 0
		.amdhsa_exception_fp_ieee_underflow 0
		.amdhsa_exception_fp_ieee_inexact 0
		.amdhsa_exception_int_div_zero 0
	.end_amdhsa_kernel
	.section	.text._Z16warp_load_kernelILj256ELj64ELj32ELN6hipcub17WarpLoadAlgorithmE0EiEvPT3_S3_,"axG",@progbits,_Z16warp_load_kernelILj256ELj64ELj32ELN6hipcub17WarpLoadAlgorithmE0EiEvPT3_S3_,comdat
.Lfunc_end16:
	.size	_Z16warp_load_kernelILj256ELj64ELj32ELN6hipcub17WarpLoadAlgorithmE0EiEvPT3_S3_, .Lfunc_end16-_Z16warp_load_kernelILj256ELj64ELj32ELN6hipcub17WarpLoadAlgorithmE0EiEvPT3_S3_
                                        ; -- End function
	.section	.AMDGPU.csdata,"",@progbits
; Kernel info:
; codeLenInByte = 2784
; NumSgprs: 18
; NumVgprs: 95
; ScratchSize: 0
; MemoryBound: 0
; FloatMode: 240
; IeeeMode: 1
; LDSByteSize: 0 bytes/workgroup (compile time only)
; SGPRBlocks: 2
; VGPRBlocks: 11
; NumSGPRsForWavesPerEU: 18
; NumVGPRsForWavesPerEU: 95
; Occupancy: 16
; WaveLimiterHint : 1
; COMPUTE_PGM_RSRC2:SCRATCH_EN: 0
; COMPUTE_PGM_RSRC2:USER_SGPR: 15
; COMPUTE_PGM_RSRC2:TRAP_HANDLER: 0
; COMPUTE_PGM_RSRC2:TGID_X_EN: 1
; COMPUTE_PGM_RSRC2:TGID_Y_EN: 0
; COMPUTE_PGM_RSRC2:TGID_Z_EN: 0
; COMPUTE_PGM_RSRC2:TIDIG_COMP_CNT: 0
	.section	.text._Z16warp_load_kernelILj256ELj64ELj32ELN6hipcub17WarpLoadAlgorithmE1EiEvPT3_S3_,"axG",@progbits,_Z16warp_load_kernelILj256ELj64ELj32ELN6hipcub17WarpLoadAlgorithmE1EiEvPT3_S3_,comdat
	.protected	_Z16warp_load_kernelILj256ELj64ELj32ELN6hipcub17WarpLoadAlgorithmE1EiEvPT3_S3_ ; -- Begin function _Z16warp_load_kernelILj256ELj64ELj32ELN6hipcub17WarpLoadAlgorithmE1EiEvPT3_S3_
	.globl	_Z16warp_load_kernelILj256ELj64ELj32ELN6hipcub17WarpLoadAlgorithmE1EiEvPT3_S3_
	.p2align	8
	.type	_Z16warp_load_kernelILj256ELj64ELj32ELN6hipcub17WarpLoadAlgorithmE1EiEvPT3_S3_,@function
_Z16warp_load_kernelILj256ELj64ELj32ELN6hipcub17WarpLoadAlgorithmE1EiEvPT3_S3_: ; @_Z16warp_load_kernelILj256ELj64ELj32ELN6hipcub17WarpLoadAlgorithmE1EiEvPT3_S3_
; %bb.0:
	s_load_b128 s[0:3], s[0:1], 0x0
	v_dual_mov_b32 v2, 0 :: v_dual_lshlrev_b32 v1, 6, v0
	s_lshl_b32 s4, s15, 14
	v_mbcnt_lo_u32_b32 v5, -1, 0
	s_delay_alu instid0(VALU_DEP_2) | instskip(NEXT) | instid1(VALU_DEP_3)
	v_and_or_b32 v1, 0x3800, v1, s4
	v_mov_b32_e32 v43, v2
	v_mov_b32_e32 v45, v2
	;; [unrolled: 1-line block ×4, first 2 shown]
	v_lshlrev_b64 v[3:4], 2, v[1:2]
	v_lshlrev_b32_e32 v1, 2, v5
	v_mov_b32_e32 v5, v2
	v_mov_b32_e32 v51, v2
	;; [unrolled: 1-line block ×7, first 2 shown]
	s_waitcnt lgkmcnt(0)
	v_add_co_u32 v3, vcc_lo, s0, v3
	v_add_co_ci_u32_e32 v4, vcc_lo, s1, v4, vcc_lo
	v_mov_b32_e32 v65, v2
	s_delay_alu instid0(VALU_DEP_3) | instskip(NEXT) | instid1(VALU_DEP_3)
	v_add_co_u32 v3, vcc_lo, v3, v1
	v_add_co_ci_u32_e32 v4, vcc_lo, 0, v4, vcc_lo
	v_or_b32_e32 v1, s4, v0
	s_delay_alu instid0(VALU_DEP_3)
	v_add_co_u32 v46, vcc_lo, 0x1000, v3
	s_clause 0x1f
	global_load_b32 v44, v[3:4], off
	global_load_b32 v50, v[3:4], off offset:128
	global_load_b32 v52, v[3:4], off offset:256
	;; [unrolled: 1-line block ×31, first 2 shown]
	v_add_co_ci_u32_e32 v47, vcc_lo, 0, v4, vcc_lo
	v_or_b32_e32 v4, 0x400, v1
	v_lshlrev_b64 v[6:7], 2, v[1:2]
	s_clause 0x7
	global_load_b32 v86, v[46:47], off
	global_load_b32 v87, v[46:47], off offset:128
	global_load_b32 v88, v[46:47], off offset:256
	;; [unrolled: 1-line block ×7, first 2 shown]
	v_or_b32_e32 v42, 0x500, v1
	v_lshlrev_b64 v[3:4], 2, v[4:5]
	v_mov_b32_e32 v67, v2
	v_add_co_u32 v61, vcc_lo, s2, v6
	v_add_co_ci_u32_e32 v62, vcc_lo, s3, v7, vcc_lo
	s_delay_alu instid0(VALU_DEP_4)
	v_add_co_u32 v63, vcc_lo, s2, v3
	v_add_co_ci_u32_e32 v64, vcc_lo, s3, v4, vcc_lo
	s_clause 0x17
	global_load_b32 v34, v[46:47], off offset:1024
	global_load_b32 v35, v[46:47], off offset:1152
	;; [unrolled: 1-line block ×24, first 2 shown]
	v_lshlrev_b64 v[42:43], 2, v[42:43]
	v_or_b32_e32 v47, 0x700, v1
	v_mov_b32_e32 v46, v2
	v_mov_b32_e32 v70, v2
	;; [unrolled: 1-line block ×4, first 2 shown]
	v_add_co_u32 v42, vcc_lo, s2, v42
	v_lshlrev_b64 v[47:48], 2, v[47:48]
	v_add_co_ci_u32_e32 v43, vcc_lo, s3, v43, vcc_lo
	v_mov_b32_e32 v80, v2
	v_mov_b32_e32 v82, v2
	;; [unrolled: 1-line block ×4, first 2 shown]
	s_waitcnt vmcnt(62)
	s_clause 0x1
	global_store_b32 v[61:62], v44, off
	global_store_b32 v[61:62], v50, off offset:1024
	v_or_b32_e32 v44, 0x600, v1
	s_waitcnt vmcnt(61)
	global_store_b32 v[61:62], v52, off offset:2048
	s_waitcnt vmcnt(60)
	global_store_b32 v[61:62], v54, off offset:3072
	v_or_b32_e32 v50, 0x900, v1
	v_or_b32_e32 v52, 0xa00, v1
	;; [unrolled: 1-line block ×3, first 2 shown]
	v_lshlrev_b64 v[44:45], 2, v[44:45]
	v_mov_b32_e32 v61, v2
	v_lshlrev_b64 v[50:51], 2, v[50:51]
	v_lshlrev_b64 v[52:53], 2, v[52:53]
	;; [unrolled: 1-line block ×3, first 2 shown]
	v_or_b32_e32 v62, 0x1300, v1
	v_add_co_u32 v44, vcc_lo, s2, v44
	v_add_co_ci_u32_e32 v45, vcc_lo, s3, v45, vcc_lo
	v_add_co_u32 v68, vcc_lo, s2, v47
	v_add_co_ci_u32_e32 v69, vcc_lo, s3, v48, vcc_lo
	v_or_b32_e32 v48, 0x800, v1
	s_waitcnt vmcnt(58)
	global_store_b32 v[42:43], v59, off
	s_waitcnt vmcnt(57)
	s_clause 0x1
	global_store_b32 v[44:45], v66, off
	global_store_b32 v[63:64], v56, off
	s_waitcnt vmcnt(56)
	global_store_b32 v[68:69], v71, off
	v_lshlrev_b64 v[44:45], 2, v[48:49]
	v_or_b32_e32 v56, 0xc00, v1
	v_or_b32_e32 v59, 0xe00, v1
	;; [unrolled: 1-line block ×4, first 2 shown]
	v_mov_b32_e32 v63, v2
	v_add_co_u32 v44, vcc_lo, s2, v44
	v_add_co_ci_u32_e32 v45, vcc_lo, s3, v45, vcc_lo
	v_add_co_u32 v50, vcc_lo, s2, v50
	v_add_co_ci_u32_e32 v51, vcc_lo, s3, v51, vcc_lo
	s_waitcnt vmcnt(55)
	global_store_b32 v[44:45], v73, off
	v_lshlrev_b64 v[44:45], 2, v[56:57]
	v_or_b32_e32 v57, 0xd00, v1
	v_add_co_u32 v52, vcc_lo, s2, v52
	v_add_co_ci_u32_e32 v53, vcc_lo, s3, v53, vcc_lo
	v_add_co_u32 v54, vcc_lo, s2, v54
	s_delay_alu instid0(VALU_DEP_4)
	v_lshlrev_b64 v[57:58], 2, v[57:58]
	v_add_co_ci_u32_e32 v55, vcc_lo, s3, v55, vcc_lo
	s_waitcnt vmcnt(54)
	global_store_b32 v[50:51], v75, off
	v_add_co_u32 v68, vcc_lo, s2, v44
	v_add_co_ci_u32_e32 v69, vcc_lo, s3, v45, vcc_lo
	v_or_b32_e32 v45, 0xf00, v1
	v_add_co_u32 v57, vcc_lo, s2, v57
	v_add_co_ci_u32_e32 v58, vcc_lo, s3, v58, vcc_lo
	s_waitcnt vmcnt(52)
	global_store_b32 v[54:55], v77, off
	v_lshlrev_b64 v[54:55], 2, v[59:60]
	v_lshlrev_b64 v[44:45], 2, v[45:46]
	s_waitcnt vmcnt(50)
	global_store_b32 v[57:58], v79, off
	v_or_b32_e32 v60, 0x1100, v1
	v_lshlrev_b64 v[64:65], 2, v[64:65]
	v_lshlrev_b64 v[66:67], 2, v[66:67]
	v_add_co_u32 v54, vcc_lo, s2, v54
	v_add_co_ci_u32_e32 v55, vcc_lo, s3, v55, vcc_lo
	v_add_co_u32 v44, vcc_lo, s2, v44
	v_lshlrev_b64 v[60:61], 2, v[60:61]
	v_add_co_ci_u32_e32 v45, vcc_lo, s3, v45, vcc_lo
	v_add_co_u32 v64, vcc_lo, s2, v64
	v_mov_b32_e32 v43, v2
	v_or_b32_e32 v42, 0x1400, v1
	v_add_co_ci_u32_e32 v65, vcc_lo, s3, v65, vcc_lo
	v_lshlrev_b64 v[62:63], 2, v[62:63]
	v_add_co_u32 v60, vcc_lo, s2, v60
	v_mov_b32_e32 v47, v2
	v_or_b32_e32 v46, 0x1500, v1
	v_add_co_ci_u32_e32 v61, vcc_lo, s3, v61, vcc_lo
	v_lshlrev_b64 v[42:43], 2, v[42:43]
	v_add_co_u32 v66, vcc_lo, s2, v66
	v_mov_b32_e32 v56, v2
	global_store_b32 v[52:53], v76, off
	s_waitcnt vmcnt(49)
	global_store_b32 v[54:55], v81, off
	s_waitcnt vmcnt(47)
	global_store_b32 v[64:65], v33, off
	v_mov_b32_e32 v76, v2
	global_store_b32 v[68:69], v78, off
	v_mov_b32_e32 v78, v2
	v_or_b32_e32 v69, 0x1600, v1
	v_or_b32_e32 v71, 0x1800, v1
	;; [unrolled: 1-line block ×8, first 2 shown]
	v_add_co_ci_u32_e32 v67, vcc_lo, s3, v67, vcc_lo
	global_store_b32 v[44:45], v83, off
	v_or_b32_e32 v83, 0x2200, v1
	v_lshlrev_b64 v[45:46], 2, v[46:47]
	v_add_co_u32 v62, vcc_lo, s2, v62
	v_or_b32_e32 v48, 0x1700, v1
	v_add_co_ci_u32_e32 v63, vcc_lo, s3, v63, vcc_lo
	v_lshlrev_b64 v[68:69], 2, v[69:70]
	v_lshlrev_b64 v[70:71], 2, v[71:72]
	;; [unrolled: 1-line block ×8, first 2 shown]
	v_add_co_u32 v82, vcc_lo, s2, v42
	v_lshlrev_b64 v[80:81], 2, v[83:84]
	v_add_co_ci_u32_e32 v83, vcc_lo, s3, v43, vcc_lo
	v_lshlrev_b64 v[47:48], 2, v[48:49]
	v_add_co_u32 v45, vcc_lo, s2, v45
	v_add_co_ci_u32_e32 v46, vcc_lo, s3, v46, vcc_lo
	v_add_co_u32 v68, vcc_lo, s2, v68
	v_mov_b32_e32 v51, v2
	v_or_b32_e32 v50, 0x1a00, v1
	v_add_co_ci_u32_e32 v69, vcc_lo, s3, v69, vcc_lo
	v_add_co_u32 v47, vcc_lo, s2, v47
	v_add_co_ci_u32_e32 v48, vcc_lo, s3, v48, vcc_lo
	s_delay_alu instid0(VALU_DEP_4)
	v_lshlrev_b64 v[49:50], 2, v[50:51]
	v_add_co_u32 v70, vcc_lo, s2, v70
	v_mov_b32_e32 v53, v2
	v_or_b32_e32 v52, 0x1c00, v1
	v_add_co_ci_u32_e32 v71, vcc_lo, s3, v71, vcc_lo
	v_add_co_u32 v72, vcc_lo, s2, v72
	v_add_co_ci_u32_e32 v73, vcc_lo, s3, v73, vcc_lo
	s_delay_alu instid0(VALU_DEP_4)
	v_lshlrev_b64 v[51:52], 2, v[52:53]
	;; [unrolled: 8-line block ×3, first 2 shown]
	v_add_co_u32 v51, vcc_lo, s2, v51
	v_add_co_ci_u32_e32 v52, vcc_lo, s3, v52, vcc_lo
	v_add_co_u32 v55, vcc_lo, s2, v56
	v_add_co_ci_u32_e32 v56, vcc_lo, s3, v57, vcc_lo
	;; [unrolled: 2-line block ×3, first 2 shown]
	v_add_co_u32 v74, vcc_lo, s2, v74
	v_mov_b32_e32 v44, v2
	v_or_b32_e32 v43, 0x2300, v1
	v_add_co_ci_u32_e32 v75, vcc_lo, s3, v75, vcc_lo
	v_add_co_u32 v76, vcc_lo, s2, v76
	v_or_b32_e32 v84, 0x2400, v1
	v_add_co_ci_u32_e32 v77, vcc_lo, s3, v77, vcc_lo
	v_add_co_u32 v78, vcc_lo, s2, v78
	v_lshlrev_b64 v[42:43], 2, v[43:44]
	v_mov_b32_e32 v65, v2
	v_or_b32_e32 v64, 0x2500, v1
	v_add_co_ci_u32_e32 v79, vcc_lo, s3, v79, vcc_lo
	v_add_co_u32 v80, vcc_lo, s2, v80
	v_lshlrev_b64 v[84:85], 2, v[84:85]
	s_waitcnt vmcnt(46)
	global_store_b32 v[60:61], v18, off
	s_waitcnt vmcnt(45)
	global_store_b32 v[66:67], v19, off
	;; [unrolled: 2-line block ×15, first 2 shown]
	v_or_b32_e32 v22, 0x2600, v1
	v_mov_b32_e32 v23, v2
	v_add_co_ci_u32_e32 v81, vcc_lo, s3, v81, vcc_lo
	v_add_co_u32 v18, vcc_lo, s2, v42
	v_lshlrev_b64 v[20:21], 2, v[64:65]
	v_or_b32_e32 v26, 0x2700, v1
	v_mov_b32_e32 v27, v2
	v_add_co_ci_u32_e32 v19, vcc_lo, s3, v43, vcc_lo
	v_add_co_u32 v24, vcc_lo, s2, v84
	v_lshlrev_b64 v[22:23], 2, v[22:23]
	v_add_co_ci_u32_e32 v25, vcc_lo, s3, v85, vcc_lo
	v_add_co_u32 v20, vcc_lo, s2, v20
	v_lshlrev_b64 v[26:27], 2, v[26:27]
	v_add_co_ci_u32_e32 v21, vcc_lo, s3, v21, vcc_lo
	v_or_b32_e32 v28, 0x2800, v1
	v_mov_b32_e32 v29, v2
	v_add_co_u32 v22, vcc_lo, s2, v22
	v_add_co_ci_u32_e32 v23, vcc_lo, s3, v23, vcc_lo
	v_or_b32_e32 v30, 0x2900, v1
	v_mov_b32_e32 v31, v2
	v_add_co_u32 v26, vcc_lo, s2, v26
	v_lshlrev_b64 v[28:29], 2, v[28:29]
	v_add_co_ci_u32_e32 v27, vcc_lo, s3, v27, vcc_lo
	s_waitcnt vmcnt(31)
	global_store_b32 v[76:77], v86, off
	s_waitcnt vmcnt(30)
	global_store_b32 v[78:79], v87, off
	s_waitcnt vmcnt(29)
	global_store_b32 v[80:81], v88, off
	s_waitcnt vmcnt(28)
	global_store_b32 v[18:19], v89, off
	s_waitcnt vmcnt(27)
	global_store_b32 v[24:25], v90, off
	s_waitcnt vmcnt(26)
	global_store_b32 v[20:21], v91, off
	s_waitcnt vmcnt(25)
	global_store_b32 v[22:23], v92, off
	s_waitcnt vmcnt(24)
	global_store_b32 v[26:27], v93, off
	v_or_b32_e32 v20, 0x2a00, v1
	v_mov_b32_e32 v21, v2
	v_lshlrev_b64 v[18:19], 2, v[30:31]
	v_or_b32_e32 v24, 0x2b00, v1
	v_mov_b32_e32 v25, v2
	v_add_co_u32 v22, vcc_lo, s2, v28
	v_lshlrev_b64 v[20:21], 2, v[20:21]
	v_or_b32_e32 v26, 0x2c00, v1
	v_mov_b32_e32 v27, v2
	v_add_co_ci_u32_e32 v23, vcc_lo, s3, v29, vcc_lo
	v_add_co_u32 v18, vcc_lo, s2, v18
	v_lshlrev_b64 v[24:25], 2, v[24:25]
	v_or_b32_e32 v28, 0x2d00, v1
	v_mov_b32_e32 v29, v2
	v_add_co_ci_u32_e32 v19, vcc_lo, s3, v19, vcc_lo
	v_add_co_u32 v20, vcc_lo, s2, v20
	v_lshlrev_b64 v[26:27], 2, v[26:27]
	v_or_b32_e32 v30, 0x2e00, v1
	v_add_co_ci_u32_e32 v21, vcc_lo, s3, v21, vcc_lo
	v_add_co_u32 v24, vcc_lo, s2, v24
	v_lshlrev_b64 v[28:29], 2, v[28:29]
	v_or_b32_e32 v32, 0x2f00, v1
	v_mov_b32_e32 v33, v2
	v_add_co_ci_u32_e32 v25, vcc_lo, s3, v25, vcc_lo
	v_add_co_u32 v26, vcc_lo, s2, v26
	v_lshlrev_b64 v[30:31], 2, v[30:31]
	v_add_co_ci_u32_e32 v27, vcc_lo, s3, v27, vcc_lo
	v_add_co_u32 v28, vcc_lo, s2, v28
	v_lshlrev_b64 v[32:33], 2, v[32:33]
	v_add_co_ci_u32_e32 v29, vcc_lo, s3, v29, vcc_lo
	v_or_b32_e32 v42, 0x3000, v1
	v_mov_b32_e32 v43, v2
	v_add_co_u32 v30, vcc_lo, s2, v30
	v_add_co_ci_u32_e32 v31, vcc_lo, s3, v31, vcc_lo
	v_or_b32_e32 v44, 0x3100, v1
	v_mov_b32_e32 v45, v2
	v_add_co_u32 v32, vcc_lo, s2, v32
	v_lshlrev_b64 v[42:43], 2, v[42:43]
	v_add_co_ci_u32_e32 v33, vcc_lo, s3, v33, vcc_lo
	s_waitcnt vmcnt(23)
	global_store_b32 v[22:23], v34, off
	s_waitcnt vmcnt(22)
	global_store_b32 v[18:19], v35, off
	;; [unrolled: 2-line block ×8, first 2 shown]
	v_or_b32_e32 v20, 0x3200, v1
	v_mov_b32_e32 v21, v2
	v_lshlrev_b64 v[18:19], 2, v[44:45]
	v_or_b32_e32 v24, 0x3300, v1
	v_mov_b32_e32 v25, v2
	v_add_co_u32 v22, vcc_lo, s2, v42
	v_lshlrev_b64 v[20:21], 2, v[20:21]
	v_or_b32_e32 v26, 0x3400, v1
	v_mov_b32_e32 v27, v2
	v_add_co_ci_u32_e32 v23, vcc_lo, s3, v43, vcc_lo
	v_add_co_u32 v18, vcc_lo, s2, v18
	v_lshlrev_b64 v[24:25], 2, v[24:25]
	v_or_b32_e32 v28, 0x3500, v1
	v_mov_b32_e32 v29, v2
	v_add_co_ci_u32_e32 v19, vcc_lo, s3, v19, vcc_lo
	;; [unrolled: 5-line block ×4, first 2 shown]
	v_add_co_u32 v26, vcc_lo, s2, v26
	v_lshlrev_b64 v[30:31], 2, v[30:31]
	v_add_co_ci_u32_e32 v27, vcc_lo, s3, v27, vcc_lo
	v_add_co_u32 v28, vcc_lo, s2, v28
	v_lshlrev_b64 v[32:33], 2, v[32:33]
	v_add_co_ci_u32_e32 v29, vcc_lo, s3, v29, vcc_lo
	v_or_b32_e32 v34, 0x3800, v1
	v_mov_b32_e32 v35, v2
	v_add_co_u32 v30, vcc_lo, s2, v30
	v_add_co_ci_u32_e32 v31, vcc_lo, s3, v31, vcc_lo
	v_or_b32_e32 v36, 0x3900, v1
	v_mov_b32_e32 v37, v2
	v_add_co_u32 v32, vcc_lo, s2, v32
	v_lshlrev_b64 v[34:35], 2, v[34:35]
	v_add_co_ci_u32_e32 v33, vcc_lo, s3, v33, vcc_lo
	s_waitcnt vmcnt(15)
	global_store_b32 v[22:23], v10, off
	s_waitcnt vmcnt(14)
	global_store_b32 v[18:19], v11, off
	;; [unrolled: 2-line block ×8, first 2 shown]
	v_or_b32_e32 v12, 0x3a00, v1
	v_mov_b32_e32 v13, v2
	v_lshlrev_b64 v[10:11], 2, v[36:37]
	v_or_b32_e32 v16, 0x3b00, v1
	v_mov_b32_e32 v17, v2
	v_add_co_u32 v14, vcc_lo, s2, v34
	v_lshlrev_b64 v[12:13], 2, v[12:13]
	v_or_b32_e32 v18, 0x3c00, v1
	v_mov_b32_e32 v19, v2
	v_add_co_ci_u32_e32 v15, vcc_lo, s3, v35, vcc_lo
	v_add_co_u32 v10, vcc_lo, s2, v10
	v_lshlrev_b64 v[16:17], 2, v[16:17]
	v_or_b32_e32 v20, 0x3d00, v1
	v_mov_b32_e32 v21, v2
	v_add_co_ci_u32_e32 v11, vcc_lo, s3, v11, vcc_lo
	;; [unrolled: 5-line block ×3, first 2 shown]
	v_add_co_u32 v16, vcc_lo, s2, v16
	v_lshlrev_b64 v[20:21], 2, v[20:21]
	v_or_b32_e32 v1, 0x3f00, v1
	v_add_co_ci_u32_e32 v17, vcc_lo, s3, v17, vcc_lo
	v_add_co_u32 v18, vcc_lo, s2, v18
	v_lshlrev_b64 v[22:23], 2, v[22:23]
	v_add_co_ci_u32_e32 v19, vcc_lo, s3, v19, vcc_lo
	v_add_co_u32 v20, vcc_lo, s2, v20
	v_lshlrev_b64 v[1:2], 2, v[1:2]
	v_add_co_ci_u32_e32 v21, vcc_lo, s3, v21, vcc_lo
	v_add_co_u32 v22, vcc_lo, s2, v22
	v_add_co_ci_u32_e32 v23, vcc_lo, s3, v23, vcc_lo
	s_delay_alu instid0(VALU_DEP_4)
	v_add_co_u32 v1, vcc_lo, s2, v1
	v_add_co_ci_u32_e32 v2, vcc_lo, s3, v2, vcc_lo
	s_waitcnt vmcnt(7)
	global_store_b32 v[14:15], v3, off
	s_waitcnt vmcnt(6)
	global_store_b32 v[10:11], v4, off
	;; [unrolled: 2-line block ×8, first 2 shown]
	s_nop 0
	s_sendmsg sendmsg(MSG_DEALLOC_VGPRS)
	s_endpgm
	.section	.rodata,"a",@progbits
	.p2align	6, 0x0
	.amdhsa_kernel _Z16warp_load_kernelILj256ELj64ELj32ELN6hipcub17WarpLoadAlgorithmE1EiEvPT3_S3_
		.amdhsa_group_segment_fixed_size 0
		.amdhsa_private_segment_fixed_size 0
		.amdhsa_kernarg_size 16
		.amdhsa_user_sgpr_count 15
		.amdhsa_user_sgpr_dispatch_ptr 0
		.amdhsa_user_sgpr_queue_ptr 0
		.amdhsa_user_sgpr_kernarg_segment_ptr 1
		.amdhsa_user_sgpr_dispatch_id 0
		.amdhsa_user_sgpr_private_segment_size 0
		.amdhsa_wavefront_size32 1
		.amdhsa_uses_dynamic_stack 0
		.amdhsa_enable_private_segment 0
		.amdhsa_system_sgpr_workgroup_id_x 1
		.amdhsa_system_sgpr_workgroup_id_y 0
		.amdhsa_system_sgpr_workgroup_id_z 0
		.amdhsa_system_sgpr_workgroup_info 0
		.amdhsa_system_vgpr_workitem_id 0
		.amdhsa_next_free_vgpr 94
		.amdhsa_next_free_sgpr 16
		.amdhsa_reserve_vcc 1
		.amdhsa_float_round_mode_32 0
		.amdhsa_float_round_mode_16_64 0
		.amdhsa_float_denorm_mode_32 3
		.amdhsa_float_denorm_mode_16_64 3
		.amdhsa_dx10_clamp 1
		.amdhsa_ieee_mode 1
		.amdhsa_fp16_overflow 0
		.amdhsa_workgroup_processor_mode 1
		.amdhsa_memory_ordered 1
		.amdhsa_forward_progress 0
		.amdhsa_shared_vgpr_count 0
		.amdhsa_exception_fp_ieee_invalid_op 0
		.amdhsa_exception_fp_denorm_src 0
		.amdhsa_exception_fp_ieee_div_zero 0
		.amdhsa_exception_fp_ieee_overflow 0
		.amdhsa_exception_fp_ieee_underflow 0
		.amdhsa_exception_fp_ieee_inexact 0
		.amdhsa_exception_int_div_zero 0
	.end_amdhsa_kernel
	.section	.text._Z16warp_load_kernelILj256ELj64ELj32ELN6hipcub17WarpLoadAlgorithmE1EiEvPT3_S3_,"axG",@progbits,_Z16warp_load_kernelILj256ELj64ELj32ELN6hipcub17WarpLoadAlgorithmE1EiEvPT3_S3_,comdat
.Lfunc_end17:
	.size	_Z16warp_load_kernelILj256ELj64ELj32ELN6hipcub17WarpLoadAlgorithmE1EiEvPT3_S3_, .Lfunc_end17-_Z16warp_load_kernelILj256ELj64ELj32ELN6hipcub17WarpLoadAlgorithmE1EiEvPT3_S3_
                                        ; -- End function
	.section	.AMDGPU.csdata,"",@progbits
; Kernel info:
; codeLenInByte = 3356
; NumSgprs: 18
; NumVgprs: 94
; ScratchSize: 0
; MemoryBound: 0
; FloatMode: 240
; IeeeMode: 1
; LDSByteSize: 0 bytes/workgroup (compile time only)
; SGPRBlocks: 2
; VGPRBlocks: 11
; NumSGPRsForWavesPerEU: 18
; NumVGPRsForWavesPerEU: 94
; Occupancy: 16
; WaveLimiterHint : 1
; COMPUTE_PGM_RSRC2:SCRATCH_EN: 0
; COMPUTE_PGM_RSRC2:USER_SGPR: 15
; COMPUTE_PGM_RSRC2:TRAP_HANDLER: 0
; COMPUTE_PGM_RSRC2:TGID_X_EN: 1
; COMPUTE_PGM_RSRC2:TGID_Y_EN: 0
; COMPUTE_PGM_RSRC2:TGID_Z_EN: 0
; COMPUTE_PGM_RSRC2:TIDIG_COMP_CNT: 0
	.section	.text._Z16warp_load_kernelILj256ELj64ELj32ELN6hipcub17WarpLoadAlgorithmE2EiEvPT3_S3_,"axG",@progbits,_Z16warp_load_kernelILj256ELj64ELj32ELN6hipcub17WarpLoadAlgorithmE2EiEvPT3_S3_,comdat
	.protected	_Z16warp_load_kernelILj256ELj64ELj32ELN6hipcub17WarpLoadAlgorithmE2EiEvPT3_S3_ ; -- Begin function _Z16warp_load_kernelILj256ELj64ELj32ELN6hipcub17WarpLoadAlgorithmE2EiEvPT3_S3_
	.globl	_Z16warp_load_kernelILj256ELj64ELj32ELN6hipcub17WarpLoadAlgorithmE2EiEvPT3_S3_
	.p2align	8
	.type	_Z16warp_load_kernelILj256ELj64ELj32ELN6hipcub17WarpLoadAlgorithmE2EiEvPT3_S3_,@function
_Z16warp_load_kernelILj256ELj64ELj32ELN6hipcub17WarpLoadAlgorithmE2EiEvPT3_S3_: ; @_Z16warp_load_kernelILj256ELj64ELj32ELN6hipcub17WarpLoadAlgorithmE2EiEvPT3_S3_
; %bb.0:
	s_load_b128 s[0:3], s[0:1], 0x0
	v_mov_b32_e32 v45, 0
	v_lshlrev_b32_e32 v1, 6, v0
	s_lshl_b32 s4, s15, 14
	v_mbcnt_lo_u32_b32 v3, -1, 0
	s_delay_alu instid0(VALU_DEP_3) | instskip(NEXT) | instid1(VALU_DEP_3)
	v_mov_b32_e32 v70, v45
	v_and_or_b32 v44, 0x3800, v1, s4
	s_delay_alu instid0(VALU_DEP_3) | instskip(SKIP_2) | instid1(VALU_DEP_4)
	v_dual_mov_b32 v72, v45 :: v_dual_lshlrev_b32 v3, 8, v3
	v_mov_b32_e32 v67, v45
	v_mov_b32_e32 v69, v45
	v_lshlrev_b64 v[1:2], 2, v[44:45]
	v_or_b32_e32 v44, s4, v0
	v_mov_b32_e32 v74, v45
	v_mov_b32_e32 v76, v45
	v_mov_b32_e32 v78, v45
	v_mov_b32_e32 v79, v45
	v_or_b32_e32 v0, 0x400, v44
	v_lshlrev_b64 v[4:5], 2, v[44:45]
	s_waitcnt lgkmcnt(0)
	v_add_co_u32 v1, vcc_lo, s0, v1
	v_add_co_ci_u32_e32 v2, vcc_lo, s1, v2, vcc_lo
	v_or_b32_e32 v66, 0x600, v44
	s_delay_alu instid0(VALU_DEP_3) | instskip(NEXT) | instid1(VALU_DEP_3)
	v_add_co_u32 v12, vcc_lo, v1, v3
	v_add_co_ci_u32_e32 v13, vcc_lo, 0, v2, vcc_lo
	v_mov_b32_e32 v1, v45
	v_mov_b32_e32 v3, v45
	v_or_b32_e32 v2, 0x500, v44
	s_clause 0x9
	global_load_b128 v[46:49], v[12:13], off
	global_load_b128 v[50:53], v[12:13], off offset:16
	global_load_b128 v[54:57], v[12:13], off offset:32
	;; [unrolled: 1-line block ×9, first 2 shown]
	v_add_co_u32 v86, vcc_lo, s2, v4
	v_lshlrev_b64 v[0:1], 2, v[0:1]
	v_add_co_ci_u32_e32 v87, vcc_lo, s3, v5, vcc_lo
	v_lshlrev_b64 v[84:85], 2, v[2:3]
	v_or_b32_e32 v68, 0x700, v44
	v_lshlrev_b64 v[66:67], 2, v[66:67]
	v_add_co_u32 v88, vcc_lo, s2, v0
	v_add_co_ci_u32_e32 v89, vcc_lo, s3, v1, vcc_lo
	s_clause 0x5
	global_load_b128 v[36:39], v[12:13], off offset:176
	global_load_b128 v[40:43], v[12:13], off offset:160
	;; [unrolled: 1-line block ×6, first 2 shown]
	v_lshlrev_b64 v[68:69], 2, v[68:69]
	v_add_co_u32 v84, vcc_lo, s2, v84
	v_add_co_ci_u32_e32 v85, vcc_lo, s3, v85, vcc_lo
	v_add_co_u32 v66, vcc_lo, s2, v66
	v_add_co_ci_u32_e32 v67, vcc_lo, s3, v67, vcc_lo
	;; [unrolled: 2-line block ×3, first 2 shown]
	v_or_b32_e32 v71, 0x900, v44
	v_or_b32_e32 v73, 0xa00, v44
	;; [unrolled: 1-line block ×4, first 2 shown]
	v_mov_b32_e32 v81, v45
	v_lshlrev_b64 v[71:72], 2, v[71:72]
	v_lshlrev_b64 v[73:74], 2, v[73:74]
	;; [unrolled: 1-line block ×4, first 2 shown]
	v_or_b32_e32 v80, 0xe00, v44
	v_mov_b32_e32 v83, v45
	v_or_b32_e32 v82, 0xf00, v44
	v_mov_b32_e32 v91, v45
	;; [unrolled: 2-line block ×4, first 2 shown]
	s_waitcnt vmcnt(15)
	s_clause 0x3
	global_store_b32 v[86:87], v46, off
	global_store_b32 v[86:87], v47, off offset:1024
	global_store_b32 v[86:87], v48, off offset:2048
	;; [unrolled: 1-line block ×3, first 2 shown]
	s_waitcnt vmcnt(14)
	s_clause 0x1
	global_store_b32 v[84:85], v51, off
	global_store_b32 v[68:69], v53, off
	v_or_b32_e32 v69, 0x800, v44
	v_mov_b32_e32 v47, v45
	v_or_b32_e32 v46, 0x1000, v44
	v_mov_b32_e32 v49, v45
	v_or_b32_e32 v48, 0x1100, v44
	v_lshlrev_b64 v[69:70], 2, v[69:70]
	v_mov_b32_e32 v86, v45
	v_lshlrev_b64 v[46:47], 2, v[46:47]
	v_or_b32_e32 v87, 0x1300, v44
	v_lshlrev_b64 v[48:49], 2, v[48:49]
	v_mov_b32_e32 v51, v45
	v_add_co_u32 v69, vcc_lo, s2, v69
	v_add_co_ci_u32_e32 v70, vcc_lo, s3, v70, vcc_lo
	v_add_co_u32 v71, vcc_lo, s2, v71
	v_add_co_ci_u32_e32 v72, vcc_lo, s3, v72, vcc_lo
	;; [unrolled: 2-line block ×5, first 2 shown]
	v_or_b32_e32 v78, 0xd00, v44
	s_waitcnt vmcnt(13)
	global_store_b32 v[71:72], v55, off
	v_mov_b32_e32 v68, v45
	v_mov_b32_e32 v77, v45
	v_or_b32_e32 v53, 0x1900, v44
	v_lshlrev_b64 v[71:72], 2, v[78:79]
	v_lshlrev_b64 v[78:79], 2, v[80:81]
	;; [unrolled: 1-line block ×3, first 2 shown]
	v_or_b32_e32 v55, 0x1b00, v44
	v_mov_b32_e32 v82, v45
	v_or_b32_e32 v83, 0x2000, v44
	v_add_co_u32 v71, vcc_lo, s2, v71
	v_add_co_ci_u32_e32 v72, vcc_lo, s3, v72, vcc_lo
	v_add_co_u32 v78, vcc_lo, s2, v78
	v_add_co_ci_u32_e32 v79, vcc_lo, s3, v79, vcc_lo
	v_add_co_u32 v80, vcc_lo, s2, v80
	v_add_co_ci_u32_e32 v81, vcc_lo, s3, v81, vcc_lo
	global_store_b32 v[73:74], v56, off
	v_add_co_u32 v46, vcc_lo, s2, v46
	s_waitcnt vmcnt(12)
	global_store_b32 v[80:81], v61, off
	v_add_co_ci_u32_e32 v47, vcc_lo, s3, v47, vcc_lo
	v_add_co_u32 v48, vcc_lo, s2, v48
	s_clause 0x3
	global_store_b32 v[69:70], v54, off
	global_store_b32 v[71:72], v59, off
	;; [unrolled: 1-line block ×4, first 2 shown]
	v_or_b32_e32 v85, 0x1200, v44
	v_add_co_ci_u32_e32 v49, vcc_lo, s3, v49, vcc_lo
	s_waitcnt vmcnt(11)
	s_clause 0x2
	global_store_b32 v[46:47], v62, off
	global_store_b32 v[66:67], v52, off
	;; [unrolled: 1-line block ×3, first 2 shown]
	v_mov_b32_e32 v88, v45
	v_lshlrev_b64 v[71:72], 2, v[85:86]
	v_or_b32_e32 v50, 0x1400, v44
	v_mov_b32_e32 v52, v45
	v_mov_b32_e32 v66, v45
	v_lshlrev_b64 v[80:81], 2, v[87:88]
	global_store_b32 v[48:49], v63, off
	v_lshlrev_b64 v[50:51], 2, v[50:51]
	v_add_co_u32 v71, vcc_lo, s2, v71
	v_add_co_ci_u32_e32 v72, vcc_lo, s3, v72, vcc_lo
	v_add_co_u32 v80, vcc_lo, s2, v80
	v_add_co_ci_u32_e32 v81, vcc_lo, s3, v81, vcc_lo
	;; [unrolled: 2-line block ×3, first 2 shown]
	v_or_b32_e32 v51, 0x1500, v44
	s_clause 0x1
	global_store_b32 v[78:79], v60, off
	global_store_b32 v[80:81], v65, off
	s_waitcnt vmcnt(10)
	global_store_b32 v[85:86], v32, off
	v_or_b32_e32 v65, 0x1600, v44
	v_lshlrev_b64 v[51:52], 2, v[51:52]
	v_mov_b32_e32 v50, v45
	v_or_b32_e32 v67, 0x1700, v44
	v_or_b32_e32 v49, 0x2400, v44
	v_lshlrev_b64 v[65:66], 2, v[65:66]
	v_or_b32_e32 v76, 0x1800, v44
	v_mov_b32_e32 v54, v45
	v_lshlrev_b64 v[67:68], 2, v[67:68]
	v_lshlrev_b64 v[48:49], 2, v[49:50]
	v_add_co_u32 v50, vcc_lo, s2, v51
	v_add_co_ci_u32_e32 v51, vcc_lo, s3, v52, vcc_lo
	v_lshlrev_b64 v[76:77], 2, v[76:77]
	v_add_co_u32 v65, vcc_lo, s2, v65
	v_mov_b32_e32 v70, v45
	v_mov_b32_e32 v73, v45
	;; [unrolled: 1-line block ×3, first 2 shown]
	global_store_b32 v[71:72], v64, off
	v_or_b32_e32 v69, 0x1a00, v44
	v_or_b32_e32 v72, 0x1c00, v44
	;; [unrolled: 1-line block ×3, first 2 shown]
	v_add_co_ci_u32_e32 v66, vcc_lo, s3, v66, vcc_lo
	v_lshlrev_b64 v[53:54], 2, v[53:54]
	v_add_co_u32 v67, vcc_lo, s2, v67
	v_mov_b32_e32 v56, v45
	v_add_co_ci_u32_e32 v68, vcc_lo, s3, v68, vcc_lo
	v_lshlrev_b64 v[69:70], 2, v[69:70]
	v_lshlrev_b64 v[71:72], 2, v[72:73]
	;; [unrolled: 1-line block ×3, first 2 shown]
	v_add_co_u32 v75, vcc_lo, s2, v76
	v_add_co_ci_u32_e32 v76, vcc_lo, s3, v77, vcc_lo
	v_lshlrev_b64 v[55:56], 2, v[55:56]
	v_add_co_u32 v52, vcc_lo, s2, v53
	v_add_co_ci_u32_e32 v53, vcc_lo, s3, v54, vcc_lo
	v_add_co_u32 v69, vcc_lo, s2, v69
	v_or_b32_e32 v81, 0x1e00, v44
	v_add_co_ci_u32_e32 v70, vcc_lo, s3, v70, vcc_lo
	v_add_co_u32 v54, vcc_lo, s2, v55
	v_mov_b32_e32 v58, v45
	v_or_b32_e32 v57, 0x1f00, v44
	v_add_co_ci_u32_e32 v55, vcc_lo, s3, v56, vcc_lo
	v_lshlrev_b64 v[80:81], 2, v[81:82]
	v_add_co_u32 v71, vcc_lo, s2, v71
	v_mov_b32_e32 v84, v45
	v_add_co_ci_u32_e32 v72, vcc_lo, s3, v72, vcc_lo
	v_lshlrev_b64 v[57:58], 2, v[57:58]
	v_add_co_u32 v73, vcc_lo, s2, v73
	v_mov_b32_e32 v60, v45
	v_or_b32_e32 v59, 0x2100, v44
	v_add_co_ci_u32_e32 v74, vcc_lo, s3, v74, vcc_lo
	v_lshlrev_b64 v[82:83], 2, v[83:84]
	v_add_co_u32 v80, vcc_lo, s2, v80
	v_mov_b32_e32 v79, v45
	v_or_b32_e32 v78, 0x2200, v44
	;; [unrolled: 5-line block ×3, first 2 shown]
	v_add_co_ci_u32_e32 v57, vcc_lo, s3, v58, vcc_lo
	v_lshlrev_b64 v[78:79], 2, v[78:79]
	v_add_co_u32 v82, vcc_lo, s2, v82
	v_add_co_ci_u32_e32 v83, vcc_lo, s3, v83, vcc_lo
	v_lshlrev_b64 v[87:88], 2, v[88:89]
	v_add_co_u32 v58, vcc_lo, s2, v59
	v_mov_b32_e32 v47, v45
	v_or_b32_e32 v46, 0x2500, v44
	v_add_co_ci_u32_e32 v59, vcc_lo, s3, v60, vcc_lo
	v_add_co_u32 v77, vcc_lo, s2, v78
	v_mov_b32_e32 v62, v45
	v_or_b32_e32 v61, 0x2600, v44
	v_add_co_ci_u32_e32 v78, vcc_lo, s3, v79, vcc_lo
	v_lshlrev_b64 v[46:47], 2, v[46:47]
	v_add_co_u32 v87, vcc_lo, s2, v87
	v_mov_b32_e32 v64, v45
	v_or_b32_e32 v63, 0x2700, v44
	v_add_co_ci_u32_e32 v88, vcc_lo, s3, v88, vcc_lo
	v_lshlrev_b64 v[61:62], 2, v[61:62]
	v_add_co_u32 v48, vcc_lo, s2, v48
	v_add_co_ci_u32_e32 v49, vcc_lo, s3, v49, vcc_lo
	v_lshlrev_b64 v[63:64], 2, v[63:64]
	v_add_co_u32 v46, vcc_lo, s2, v46
	;; [unrolled: 3-line block ×3, first 2 shown]
	v_lshlrev_b64 v[91:92], 2, v[92:93]
	v_or_b32_e32 v93, 0x2a00, v44
	v_add_co_ci_u32_e32 v61, vcc_lo, s3, v62, vcc_lo
	v_add_co_u32 v62, vcc_lo, s2, v63
	v_mov_b32_e32 v85, v45
	v_or_b32_e32 v84, 0x2b00, v44
	v_add_co_ci_u32_e32 v63, vcc_lo, s3, v64, vcc_lo
	v_add_co_u32 v89, vcc_lo, s2, v89
	v_lshlrev_b64 v[93:94], 2, v[93:94]
	s_clause 0x2
	global_store_b32 v[50:51], v33, off
	global_store_b32 v[65:66], v34, off
	global_store_b32 v[67:68], v35, off
	s_waitcnt vmcnt(9)
	s_clause 0x3
	global_store_b32 v[75:76], v28, off
	global_store_b32 v[52:53], v29, off
	global_store_b32 v[69:70], v30, off
	global_store_b32 v[54:55], v31, off
	s_waitcnt vmcnt(8)
	s_clause 0x3
	global_store_b32 v[71:72], v20, off
	;; [unrolled: 6-line block ×3, first 2 shown]
	global_store_b32 v[58:59], v25, off
	global_store_b32 v[77:78], v26, off
	;; [unrolled: 1-line block ×7, first 2 shown]
	v_or_b32_e32 v16, 0x2c00, v44
	v_mov_b32_e32 v17, v45
	v_add_co_ci_u32_e32 v90, vcc_lo, s3, v90, vcc_lo
	v_add_co_u32 v91, vcc_lo, s2, v91
	v_lshlrev_b64 v[84:85], 2, v[84:85]
	v_or_b32_e32 v20, 0x2d00, v44
	v_mov_b32_e32 v21, v45
	v_add_co_ci_u32_e32 v92, vcc_lo, s3, v92, vcc_lo
	v_add_co_u32 v18, vcc_lo, s2, v93
	v_lshlrev_b64 v[16:17], 2, v[16:17]
	;; [unrolled: 5-line block ×4, first 2 shown]
	v_add_co_ci_u32_e32 v17, vcc_lo, s3, v17, vcc_lo
	v_add_co_u32 v20, vcc_lo, s2, v20
	v_lshlrev_b64 v[26:27], 2, v[26:27]
	v_add_co_ci_u32_e32 v21, vcc_lo, s3, v21, vcc_lo
	v_or_b32_e32 v28, 0x3000, v44
	v_mov_b32_e32 v29, v45
	v_add_co_u32 v24, vcc_lo, s2, v24
	v_add_co_ci_u32_e32 v25, vcc_lo, s3, v25, vcc_lo
	v_or_b32_e32 v30, 0x3100, v44
	v_mov_b32_e32 v31, v45
	v_add_co_u32 v26, vcc_lo, s2, v26
	v_lshlrev_b64 v[28:29], 2, v[28:29]
	v_add_co_ci_u32_e32 v27, vcc_lo, s3, v27, vcc_lo
	s_waitcnt vmcnt(4)
	s_clause 0x7
	global_store_b32 v[89:90], v40, off
	global_store_b32 v[91:92], v41, off
	;; [unrolled: 1-line block ×8, first 2 shown]
	v_or_b32_e32 v18, 0x3200, v44
	v_mov_b32_e32 v19, v45
	v_lshlrev_b64 v[16:17], 2, v[30:31]
	v_or_b32_e32 v22, 0x3300, v44
	v_mov_b32_e32 v23, v45
	v_add_co_u32 v20, vcc_lo, s2, v28
	v_lshlrev_b64 v[18:19], 2, v[18:19]
	v_or_b32_e32 v24, 0x3400, v44
	v_mov_b32_e32 v25, v45
	v_add_co_ci_u32_e32 v21, vcc_lo, s3, v29, vcc_lo
	v_add_co_u32 v16, vcc_lo, s2, v16
	v_lshlrev_b64 v[22:23], 2, v[22:23]
	v_or_b32_e32 v26, 0x3500, v44
	v_mov_b32_e32 v27, v45
	v_add_co_ci_u32_e32 v17, vcc_lo, s3, v17, vcc_lo
	;; [unrolled: 5-line block ×3, first 2 shown]
	v_add_co_u32 v22, vcc_lo, s2, v22
	v_lshlrev_b64 v[26:27], 2, v[26:27]
	v_or_b32_e32 v30, 0x3700, v44
	v_add_co_ci_u32_e32 v23, vcc_lo, s3, v23, vcc_lo
	v_add_co_u32 v24, vcc_lo, s2, v24
	v_lshlrev_b64 v[28:29], 2, v[28:29]
	v_add_co_ci_u32_e32 v25, vcc_lo, s3, v25, vcc_lo
	v_add_co_u32 v26, vcc_lo, s2, v26
	v_lshlrev_b64 v[30:31], 2, v[30:31]
	v_add_co_ci_u32_e32 v27, vcc_lo, s3, v27, vcc_lo
	v_or_b32_e32 v32, 0x3800, v44
	v_mov_b32_e32 v33, v45
	v_add_co_u32 v28, vcc_lo, s2, v28
	v_add_co_ci_u32_e32 v29, vcc_lo, s3, v29, vcc_lo
	v_or_b32_e32 v34, 0x3900, v44
	v_mov_b32_e32 v35, v45
	v_add_co_u32 v30, vcc_lo, s2, v30
	v_lshlrev_b64 v[32:33], 2, v[32:33]
	v_add_co_ci_u32_e32 v31, vcc_lo, s3, v31, vcc_lo
	s_waitcnt vmcnt(0)
	s_clause 0x7
	global_store_b32 v[20:21], v12, off
	global_store_b32 v[16:17], v13, off
	;; [unrolled: 1-line block ×8, first 2 shown]
	v_or_b32_e32 v10, 0x3a00, v44
	v_mov_b32_e32 v11, v45
	v_lshlrev_b64 v[8:9], 2, v[34:35]
	v_or_b32_e32 v14, 0x3b00, v44
	v_mov_b32_e32 v15, v45
	v_add_co_u32 v12, vcc_lo, s2, v32
	v_lshlrev_b64 v[10:11], 2, v[10:11]
	v_or_b32_e32 v16, 0x3c00, v44
	v_mov_b32_e32 v17, v45
	v_add_co_ci_u32_e32 v13, vcc_lo, s3, v33, vcc_lo
	v_add_co_u32 v8, vcc_lo, s2, v8
	v_lshlrev_b64 v[14:15], 2, v[14:15]
	v_or_b32_e32 v18, 0x3d00, v44
	v_mov_b32_e32 v19, v45
	v_add_co_ci_u32_e32 v9, vcc_lo, s3, v9, vcc_lo
	;; [unrolled: 5-line block ×3, first 2 shown]
	v_add_co_u32 v14, vcc_lo, s2, v14
	v_lshlrev_b64 v[18:19], 2, v[18:19]
	v_or_b32_e32 v44, 0x3f00, v44
	v_add_co_ci_u32_e32 v15, vcc_lo, s3, v15, vcc_lo
	v_add_co_u32 v16, vcc_lo, s2, v16
	v_lshlrev_b64 v[20:21], 2, v[20:21]
	v_add_co_ci_u32_e32 v17, vcc_lo, s3, v17, vcc_lo
	v_add_co_u32 v18, vcc_lo, s2, v18
	v_lshlrev_b64 v[22:23], 2, v[44:45]
	v_add_co_ci_u32_e32 v19, vcc_lo, s3, v19, vcc_lo
	v_add_co_u32 v20, vcc_lo, s2, v20
	v_add_co_ci_u32_e32 v21, vcc_lo, s3, v21, vcc_lo
	s_delay_alu instid0(VALU_DEP_4)
	v_add_co_u32 v22, vcc_lo, s2, v22
	v_add_co_ci_u32_e32 v23, vcc_lo, s3, v23, vcc_lo
	s_clause 0x7
	global_store_b32 v[12:13], v4, off
	global_store_b32 v[8:9], v5, off
	;; [unrolled: 1-line block ×8, first 2 shown]
	s_nop 0
	s_sendmsg sendmsg(MSG_DEALLOC_VGPRS)
	s_endpgm
	.section	.rodata,"a",@progbits
	.p2align	6, 0x0
	.amdhsa_kernel _Z16warp_load_kernelILj256ELj64ELj32ELN6hipcub17WarpLoadAlgorithmE2EiEvPT3_S3_
		.amdhsa_group_segment_fixed_size 0
		.amdhsa_private_segment_fixed_size 0
		.amdhsa_kernarg_size 16
		.amdhsa_user_sgpr_count 15
		.amdhsa_user_sgpr_dispatch_ptr 0
		.amdhsa_user_sgpr_queue_ptr 0
		.amdhsa_user_sgpr_kernarg_segment_ptr 1
		.amdhsa_user_sgpr_dispatch_id 0
		.amdhsa_user_sgpr_private_segment_size 0
		.amdhsa_wavefront_size32 1
		.amdhsa_uses_dynamic_stack 0
		.amdhsa_enable_private_segment 0
		.amdhsa_system_sgpr_workgroup_id_x 1
		.amdhsa_system_sgpr_workgroup_id_y 0
		.amdhsa_system_sgpr_workgroup_id_z 0
		.amdhsa_system_sgpr_workgroup_info 0
		.amdhsa_system_vgpr_workitem_id 0
		.amdhsa_next_free_vgpr 95
		.amdhsa_next_free_sgpr 16
		.amdhsa_reserve_vcc 1
		.amdhsa_float_round_mode_32 0
		.amdhsa_float_round_mode_16_64 0
		.amdhsa_float_denorm_mode_32 3
		.amdhsa_float_denorm_mode_16_64 3
		.amdhsa_dx10_clamp 1
		.amdhsa_ieee_mode 1
		.amdhsa_fp16_overflow 0
		.amdhsa_workgroup_processor_mode 1
		.amdhsa_memory_ordered 1
		.amdhsa_forward_progress 0
		.amdhsa_shared_vgpr_count 0
		.amdhsa_exception_fp_ieee_invalid_op 0
		.amdhsa_exception_fp_denorm_src 0
		.amdhsa_exception_fp_ieee_div_zero 0
		.amdhsa_exception_fp_ieee_overflow 0
		.amdhsa_exception_fp_ieee_underflow 0
		.amdhsa_exception_fp_ieee_inexact 0
		.amdhsa_exception_int_div_zero 0
	.end_amdhsa_kernel
	.section	.text._Z16warp_load_kernelILj256ELj64ELj32ELN6hipcub17WarpLoadAlgorithmE2EiEvPT3_S3_,"axG",@progbits,_Z16warp_load_kernelILj256ELj64ELj32ELN6hipcub17WarpLoadAlgorithmE2EiEvPT3_S3_,comdat
.Lfunc_end18:
	.size	_Z16warp_load_kernelILj256ELj64ELj32ELN6hipcub17WarpLoadAlgorithmE2EiEvPT3_S3_, .Lfunc_end18-_Z16warp_load_kernelILj256ELj64ELj32ELN6hipcub17WarpLoadAlgorithmE2EiEvPT3_S3_
                                        ; -- End function
	.section	.AMDGPU.csdata,"",@progbits
; Kernel info:
; codeLenInByte = 2784
; NumSgprs: 18
; NumVgprs: 95
; ScratchSize: 0
; MemoryBound: 0
; FloatMode: 240
; IeeeMode: 1
; LDSByteSize: 0 bytes/workgroup (compile time only)
; SGPRBlocks: 2
; VGPRBlocks: 11
; NumSGPRsForWavesPerEU: 18
; NumVGPRsForWavesPerEU: 95
; Occupancy: 16
; WaveLimiterHint : 1
; COMPUTE_PGM_RSRC2:SCRATCH_EN: 0
; COMPUTE_PGM_RSRC2:USER_SGPR: 15
; COMPUTE_PGM_RSRC2:TRAP_HANDLER: 0
; COMPUTE_PGM_RSRC2:TGID_X_EN: 1
; COMPUTE_PGM_RSRC2:TGID_Y_EN: 0
; COMPUTE_PGM_RSRC2:TGID_Z_EN: 0
; COMPUTE_PGM_RSRC2:TIDIG_COMP_CNT: 0
	.section	.text._Z16warp_load_kernelILj256ELj4ELj32ELN6hipcub17WarpLoadAlgorithmE0EdEvPT3_S3_,"axG",@progbits,_Z16warp_load_kernelILj256ELj4ELj32ELN6hipcub17WarpLoadAlgorithmE0EdEvPT3_S3_,comdat
	.protected	_Z16warp_load_kernelILj256ELj4ELj32ELN6hipcub17WarpLoadAlgorithmE0EdEvPT3_S3_ ; -- Begin function _Z16warp_load_kernelILj256ELj4ELj32ELN6hipcub17WarpLoadAlgorithmE0EdEvPT3_S3_
	.globl	_Z16warp_load_kernelILj256ELj4ELj32ELN6hipcub17WarpLoadAlgorithmE0EdEvPT3_S3_
	.p2align	8
	.type	_Z16warp_load_kernelILj256ELj4ELj32ELN6hipcub17WarpLoadAlgorithmE0EdEvPT3_S3_,@function
_Z16warp_load_kernelILj256ELj4ELj32ELN6hipcub17WarpLoadAlgorithmE0EdEvPT3_S3_: ; @_Z16warp_load_kernelILj256ELj4ELj32ELN6hipcub17WarpLoadAlgorithmE0EdEvPT3_S3_
; %bb.0:
	s_load_b128 s[0:3], s[0:1], 0x0
	v_dual_mov_b32 v10, 0 :: v_dual_lshlrev_b32 v1, 2, v0
	s_lshl_b32 s4, s15, 10
	v_mbcnt_lo_u32_b32 v3, -1, 0
	s_delay_alu instid0(VALU_DEP_2) | instskip(NEXT) | instid1(VALU_DEP_3)
	v_and_or_b32 v9, 0x380, v1, s4
	v_mov_b32_e32 v12, v10
	s_delay_alu instid0(VALU_DEP_3) | instskip(NEXT) | instid1(VALU_DEP_3)
	v_dual_mov_b32 v14, v10 :: v_dual_lshlrev_b32 v3, 5, v3
	v_lshlrev_b64 v[1:2], 3, v[9:10]
	v_or_b32_e32 v9, s4, v0
	s_delay_alu instid0(VALU_DEP_1)
	v_or_b32_e32 v11, 0x100, v9
	v_lshlrev_b64 v[15:16], 3, v[9:10]
	v_or_b32_e32 v13, 0x200, v9
	s_waitcnt lgkmcnt(0)
	v_add_co_u32 v1, vcc_lo, s0, v1
	v_add_co_ci_u32_e32 v2, vcc_lo, s1, v2, vcc_lo
	v_lshlrev_b64 v[11:12], 3, v[11:12]
	s_delay_alu instid0(VALU_DEP_3) | instskip(NEXT) | instid1(VALU_DEP_3)
	v_add_co_u32 v5, vcc_lo, v1, v3
	v_add_co_ci_u32_e32 v6, vcc_lo, 0, v2, vcc_lo
	v_or_b32_e32 v9, 0x300, v9
	v_lshlrev_b64 v[13:14], 3, v[13:14]
	v_add_co_u32 v15, vcc_lo, s2, v15
	s_clause 0x1
	global_load_b128 v[1:4], v[5:6], off
	global_load_b128 v[5:8], v[5:6], off offset:16
	v_add_co_ci_u32_e32 v16, vcc_lo, s3, v16, vcc_lo
	v_lshlrev_b64 v[9:10], 3, v[9:10]
	v_add_co_u32 v11, vcc_lo, s2, v11
	v_add_co_ci_u32_e32 v12, vcc_lo, s3, v12, vcc_lo
	v_add_co_u32 v13, vcc_lo, s2, v13
	v_add_co_ci_u32_e32 v14, vcc_lo, s3, v14, vcc_lo
	;; [unrolled: 2-line block ×3, first 2 shown]
	s_waitcnt vmcnt(1)
	s_clause 0x1
	global_store_b64 v[15:16], v[1:2], off
	global_store_b64 v[11:12], v[3:4], off
	s_waitcnt vmcnt(0)
	s_clause 0x1
	global_store_b64 v[13:14], v[5:6], off
	global_store_b64 v[9:10], v[7:8], off
	s_nop 0
	s_sendmsg sendmsg(MSG_DEALLOC_VGPRS)
	s_endpgm
	.section	.rodata,"a",@progbits
	.p2align	6, 0x0
	.amdhsa_kernel _Z16warp_load_kernelILj256ELj4ELj32ELN6hipcub17WarpLoadAlgorithmE0EdEvPT3_S3_
		.amdhsa_group_segment_fixed_size 0
		.amdhsa_private_segment_fixed_size 0
		.amdhsa_kernarg_size 16
		.amdhsa_user_sgpr_count 15
		.amdhsa_user_sgpr_dispatch_ptr 0
		.amdhsa_user_sgpr_queue_ptr 0
		.amdhsa_user_sgpr_kernarg_segment_ptr 1
		.amdhsa_user_sgpr_dispatch_id 0
		.amdhsa_user_sgpr_private_segment_size 0
		.amdhsa_wavefront_size32 1
		.amdhsa_uses_dynamic_stack 0
		.amdhsa_enable_private_segment 0
		.amdhsa_system_sgpr_workgroup_id_x 1
		.amdhsa_system_sgpr_workgroup_id_y 0
		.amdhsa_system_sgpr_workgroup_id_z 0
		.amdhsa_system_sgpr_workgroup_info 0
		.amdhsa_system_vgpr_workitem_id 0
		.amdhsa_next_free_vgpr 17
		.amdhsa_next_free_sgpr 16
		.amdhsa_reserve_vcc 1
		.amdhsa_float_round_mode_32 0
		.amdhsa_float_round_mode_16_64 0
		.amdhsa_float_denorm_mode_32 3
		.amdhsa_float_denorm_mode_16_64 3
		.amdhsa_dx10_clamp 1
		.amdhsa_ieee_mode 1
		.amdhsa_fp16_overflow 0
		.amdhsa_workgroup_processor_mode 1
		.amdhsa_memory_ordered 1
		.amdhsa_forward_progress 0
		.amdhsa_shared_vgpr_count 0
		.amdhsa_exception_fp_ieee_invalid_op 0
		.amdhsa_exception_fp_denorm_src 0
		.amdhsa_exception_fp_ieee_div_zero 0
		.amdhsa_exception_fp_ieee_overflow 0
		.amdhsa_exception_fp_ieee_underflow 0
		.amdhsa_exception_fp_ieee_inexact 0
		.amdhsa_exception_int_div_zero 0
	.end_amdhsa_kernel
	.section	.text._Z16warp_load_kernelILj256ELj4ELj32ELN6hipcub17WarpLoadAlgorithmE0EdEvPT3_S3_,"axG",@progbits,_Z16warp_load_kernelILj256ELj4ELj32ELN6hipcub17WarpLoadAlgorithmE0EdEvPT3_S3_,comdat
.Lfunc_end19:
	.size	_Z16warp_load_kernelILj256ELj4ELj32ELN6hipcub17WarpLoadAlgorithmE0EdEvPT3_S3_, .Lfunc_end19-_Z16warp_load_kernelILj256ELj4ELj32ELN6hipcub17WarpLoadAlgorithmE0EdEvPT3_S3_
                                        ; -- End function
	.section	.AMDGPU.csdata,"",@progbits
; Kernel info:
; codeLenInByte = 292
; NumSgprs: 18
; NumVgprs: 17
; ScratchSize: 0
; MemoryBound: 0
; FloatMode: 240
; IeeeMode: 1
; LDSByteSize: 0 bytes/workgroup (compile time only)
; SGPRBlocks: 2
; VGPRBlocks: 2
; NumSGPRsForWavesPerEU: 18
; NumVGPRsForWavesPerEU: 17
; Occupancy: 16
; WaveLimiterHint : 0
; COMPUTE_PGM_RSRC2:SCRATCH_EN: 0
; COMPUTE_PGM_RSRC2:USER_SGPR: 15
; COMPUTE_PGM_RSRC2:TRAP_HANDLER: 0
; COMPUTE_PGM_RSRC2:TGID_X_EN: 1
; COMPUTE_PGM_RSRC2:TGID_Y_EN: 0
; COMPUTE_PGM_RSRC2:TGID_Z_EN: 0
; COMPUTE_PGM_RSRC2:TIDIG_COMP_CNT: 0
	.section	.text._Z16warp_load_kernelILj256ELj4ELj32ELN6hipcub17WarpLoadAlgorithmE1EdEvPT3_S3_,"axG",@progbits,_Z16warp_load_kernelILj256ELj4ELj32ELN6hipcub17WarpLoadAlgorithmE1EdEvPT3_S3_,comdat
	.protected	_Z16warp_load_kernelILj256ELj4ELj32ELN6hipcub17WarpLoadAlgorithmE1EdEvPT3_S3_ ; -- Begin function _Z16warp_load_kernelILj256ELj4ELj32ELN6hipcub17WarpLoadAlgorithmE1EdEvPT3_S3_
	.globl	_Z16warp_load_kernelILj256ELj4ELj32ELN6hipcub17WarpLoadAlgorithmE1EdEvPT3_S3_
	.p2align	8
	.type	_Z16warp_load_kernelILj256ELj4ELj32ELN6hipcub17WarpLoadAlgorithmE1EdEvPT3_S3_,@function
_Z16warp_load_kernelILj256ELj4ELj32ELN6hipcub17WarpLoadAlgorithmE1EdEvPT3_S3_: ; @_Z16warp_load_kernelILj256ELj4ELj32ELN6hipcub17WarpLoadAlgorithmE1EdEvPT3_S3_
; %bb.0:
	s_load_b128 s[0:3], s[0:1], 0x0
	v_dual_mov_b32 v2, 0 :: v_dual_lshlrev_b32 v1, 2, v0
	s_lshl_b32 s4, s15, 10
	v_mbcnt_lo_u32_b32 v5, -1, 0
	s_delay_alu instid0(VALU_DEP_2) | instskip(NEXT) | instid1(VALU_DEP_3)
	v_and_or_b32 v1, 0x380, v1, s4
	v_mov_b32_e32 v14, v2
	v_mov_b32_e32 v12, v2
	s_delay_alu instid0(VALU_DEP_3) | instskip(SKIP_2) | instid1(VALU_DEP_2)
	v_lshlrev_b64 v[3:4], 3, v[1:2]
	v_lshlrev_b32_e32 v1, 3, v5
	s_waitcnt lgkmcnt(0)
	v_add_co_u32 v3, vcc_lo, s0, v3
	s_delay_alu instid0(VALU_DEP_3) | instskip(NEXT) | instid1(VALU_DEP_2)
	v_add_co_ci_u32_e32 v4, vcc_lo, s1, v4, vcc_lo
	v_add_co_u32 v3, vcc_lo, v3, v1
	s_delay_alu instid0(VALU_DEP_2)
	v_add_co_ci_u32_e32 v4, vcc_lo, 0, v4, vcc_lo
	v_or_b32_e32 v1, s4, v0
	s_clause 0x3
	global_load_b64 v[5:6], v[3:4], off
	global_load_b64 v[7:8], v[3:4], off offset:256
	global_load_b64 v[9:10], v[3:4], off offset:512
	;; [unrolled: 1-line block ×3, first 2 shown]
	v_or_b32_e32 v11, 0x100, v1
	v_lshlrev_b64 v[15:16], 3, v[1:2]
	v_or_b32_e32 v13, 0x200, v1
	v_or_b32_e32 v1, 0x300, v1
	s_delay_alu instid0(VALU_DEP_4) | instskip(NEXT) | instid1(VALU_DEP_3)
	v_lshlrev_b64 v[11:12], 3, v[11:12]
	v_lshlrev_b64 v[13:14], 3, v[13:14]
	v_add_co_u32 v15, vcc_lo, s2, v15
	v_add_co_ci_u32_e32 v16, vcc_lo, s3, v16, vcc_lo
	v_lshlrev_b64 v[0:1], 3, v[1:2]
	v_add_co_u32 v11, vcc_lo, s2, v11
	v_add_co_ci_u32_e32 v12, vcc_lo, s3, v12, vcc_lo
	v_add_co_u32 v13, vcc_lo, s2, v13
	v_add_co_ci_u32_e32 v14, vcc_lo, s3, v14, vcc_lo
	;; [unrolled: 2-line block ×3, first 2 shown]
	s_waitcnt vmcnt(3)
	global_store_b64 v[15:16], v[5:6], off
	s_waitcnt vmcnt(2)
	global_store_b64 v[11:12], v[7:8], off
	;; [unrolled: 2-line block ×4, first 2 shown]
	s_nop 0
	s_sendmsg sendmsg(MSG_DEALLOC_VGPRS)
	s_endpgm
	.section	.rodata,"a",@progbits
	.p2align	6, 0x0
	.amdhsa_kernel _Z16warp_load_kernelILj256ELj4ELj32ELN6hipcub17WarpLoadAlgorithmE1EdEvPT3_S3_
		.amdhsa_group_segment_fixed_size 0
		.amdhsa_private_segment_fixed_size 0
		.amdhsa_kernarg_size 16
		.amdhsa_user_sgpr_count 15
		.amdhsa_user_sgpr_dispatch_ptr 0
		.amdhsa_user_sgpr_queue_ptr 0
		.amdhsa_user_sgpr_kernarg_segment_ptr 1
		.amdhsa_user_sgpr_dispatch_id 0
		.amdhsa_user_sgpr_private_segment_size 0
		.amdhsa_wavefront_size32 1
		.amdhsa_uses_dynamic_stack 0
		.amdhsa_enable_private_segment 0
		.amdhsa_system_sgpr_workgroup_id_x 1
		.amdhsa_system_sgpr_workgroup_id_y 0
		.amdhsa_system_sgpr_workgroup_id_z 0
		.amdhsa_system_sgpr_workgroup_info 0
		.amdhsa_system_vgpr_workitem_id 0
		.amdhsa_next_free_vgpr 17
		.amdhsa_next_free_sgpr 16
		.amdhsa_reserve_vcc 1
		.amdhsa_float_round_mode_32 0
		.amdhsa_float_round_mode_16_64 0
		.amdhsa_float_denorm_mode_32 3
		.amdhsa_float_denorm_mode_16_64 3
		.amdhsa_dx10_clamp 1
		.amdhsa_ieee_mode 1
		.amdhsa_fp16_overflow 0
		.amdhsa_workgroup_processor_mode 1
		.amdhsa_memory_ordered 1
		.amdhsa_forward_progress 0
		.amdhsa_shared_vgpr_count 0
		.amdhsa_exception_fp_ieee_invalid_op 0
		.amdhsa_exception_fp_denorm_src 0
		.amdhsa_exception_fp_ieee_div_zero 0
		.amdhsa_exception_fp_ieee_overflow 0
		.amdhsa_exception_fp_ieee_underflow 0
		.amdhsa_exception_fp_ieee_inexact 0
		.amdhsa_exception_int_div_zero 0
	.end_amdhsa_kernel
	.section	.text._Z16warp_load_kernelILj256ELj4ELj32ELN6hipcub17WarpLoadAlgorithmE1EdEvPT3_S3_,"axG",@progbits,_Z16warp_load_kernelILj256ELj4ELj32ELN6hipcub17WarpLoadAlgorithmE1EdEvPT3_S3_,comdat
.Lfunc_end20:
	.size	_Z16warp_load_kernelILj256ELj4ELj32ELN6hipcub17WarpLoadAlgorithmE1EdEvPT3_S3_, .Lfunc_end20-_Z16warp_load_kernelILj256ELj4ELj32ELN6hipcub17WarpLoadAlgorithmE1EdEvPT3_S3_
                                        ; -- End function
	.section	.AMDGPU.csdata,"",@progbits
; Kernel info:
; codeLenInByte = 312
; NumSgprs: 18
; NumVgprs: 17
; ScratchSize: 0
; MemoryBound: 0
; FloatMode: 240
; IeeeMode: 1
; LDSByteSize: 0 bytes/workgroup (compile time only)
; SGPRBlocks: 2
; VGPRBlocks: 2
; NumSGPRsForWavesPerEU: 18
; NumVGPRsForWavesPerEU: 17
; Occupancy: 16
; WaveLimiterHint : 1
; COMPUTE_PGM_RSRC2:SCRATCH_EN: 0
; COMPUTE_PGM_RSRC2:USER_SGPR: 15
; COMPUTE_PGM_RSRC2:TRAP_HANDLER: 0
; COMPUTE_PGM_RSRC2:TGID_X_EN: 1
; COMPUTE_PGM_RSRC2:TGID_Y_EN: 0
; COMPUTE_PGM_RSRC2:TGID_Z_EN: 0
; COMPUTE_PGM_RSRC2:TIDIG_COMP_CNT: 0
	.section	.text._Z16warp_load_kernelILj256ELj4ELj32ELN6hipcub17WarpLoadAlgorithmE2EdEvPT3_S3_,"axG",@progbits,_Z16warp_load_kernelILj256ELj4ELj32ELN6hipcub17WarpLoadAlgorithmE2EdEvPT3_S3_,comdat
	.protected	_Z16warp_load_kernelILj256ELj4ELj32ELN6hipcub17WarpLoadAlgorithmE2EdEvPT3_S3_ ; -- Begin function _Z16warp_load_kernelILj256ELj4ELj32ELN6hipcub17WarpLoadAlgorithmE2EdEvPT3_S3_
	.globl	_Z16warp_load_kernelILj256ELj4ELj32ELN6hipcub17WarpLoadAlgorithmE2EdEvPT3_S3_
	.p2align	8
	.type	_Z16warp_load_kernelILj256ELj4ELj32ELN6hipcub17WarpLoadAlgorithmE2EdEvPT3_S3_,@function
_Z16warp_load_kernelILj256ELj4ELj32ELN6hipcub17WarpLoadAlgorithmE2EdEvPT3_S3_: ; @_Z16warp_load_kernelILj256ELj4ELj32ELN6hipcub17WarpLoadAlgorithmE2EdEvPT3_S3_
; %bb.0:
	s_load_b128 s[0:3], s[0:1], 0x0
	v_dual_mov_b32 v10, 0 :: v_dual_lshlrev_b32 v1, 2, v0
	s_lshl_b32 s4, s15, 10
	v_mbcnt_lo_u32_b32 v3, -1, 0
	s_delay_alu instid0(VALU_DEP_2) | instskip(NEXT) | instid1(VALU_DEP_3)
	v_and_or_b32 v9, 0x380, v1, s4
	v_mov_b32_e32 v12, v10
	s_delay_alu instid0(VALU_DEP_3) | instskip(NEXT) | instid1(VALU_DEP_3)
	v_dual_mov_b32 v14, v10 :: v_dual_lshlrev_b32 v3, 5, v3
	v_lshlrev_b64 v[1:2], 3, v[9:10]
	v_or_b32_e32 v9, s4, v0
	s_delay_alu instid0(VALU_DEP_1)
	v_or_b32_e32 v11, 0x100, v9
	v_lshlrev_b64 v[15:16], 3, v[9:10]
	v_or_b32_e32 v13, 0x200, v9
	s_waitcnt lgkmcnt(0)
	v_add_co_u32 v1, vcc_lo, s0, v1
	v_add_co_ci_u32_e32 v2, vcc_lo, s1, v2, vcc_lo
	v_lshlrev_b64 v[11:12], 3, v[11:12]
	s_delay_alu instid0(VALU_DEP_3) | instskip(NEXT) | instid1(VALU_DEP_3)
	v_add_co_u32 v5, vcc_lo, v1, v3
	v_add_co_ci_u32_e32 v6, vcc_lo, 0, v2, vcc_lo
	v_or_b32_e32 v9, 0x300, v9
	v_lshlrev_b64 v[13:14], 3, v[13:14]
	v_add_co_u32 v15, vcc_lo, s2, v15
	s_clause 0x1
	global_load_b128 v[1:4], v[5:6], off
	global_load_b128 v[5:8], v[5:6], off offset:16
	v_add_co_ci_u32_e32 v16, vcc_lo, s3, v16, vcc_lo
	v_lshlrev_b64 v[9:10], 3, v[9:10]
	v_add_co_u32 v11, vcc_lo, s2, v11
	v_add_co_ci_u32_e32 v12, vcc_lo, s3, v12, vcc_lo
	v_add_co_u32 v13, vcc_lo, s2, v13
	v_add_co_ci_u32_e32 v14, vcc_lo, s3, v14, vcc_lo
	;; [unrolled: 2-line block ×3, first 2 shown]
	s_waitcnt vmcnt(1)
	s_clause 0x1
	global_store_b64 v[15:16], v[1:2], off
	global_store_b64 v[11:12], v[3:4], off
	s_waitcnt vmcnt(0)
	s_clause 0x1
	global_store_b64 v[13:14], v[5:6], off
	global_store_b64 v[9:10], v[7:8], off
	s_nop 0
	s_sendmsg sendmsg(MSG_DEALLOC_VGPRS)
	s_endpgm
	.section	.rodata,"a",@progbits
	.p2align	6, 0x0
	.amdhsa_kernel _Z16warp_load_kernelILj256ELj4ELj32ELN6hipcub17WarpLoadAlgorithmE2EdEvPT3_S3_
		.amdhsa_group_segment_fixed_size 0
		.amdhsa_private_segment_fixed_size 0
		.amdhsa_kernarg_size 16
		.amdhsa_user_sgpr_count 15
		.amdhsa_user_sgpr_dispatch_ptr 0
		.amdhsa_user_sgpr_queue_ptr 0
		.amdhsa_user_sgpr_kernarg_segment_ptr 1
		.amdhsa_user_sgpr_dispatch_id 0
		.amdhsa_user_sgpr_private_segment_size 0
		.amdhsa_wavefront_size32 1
		.amdhsa_uses_dynamic_stack 0
		.amdhsa_enable_private_segment 0
		.amdhsa_system_sgpr_workgroup_id_x 1
		.amdhsa_system_sgpr_workgroup_id_y 0
		.amdhsa_system_sgpr_workgroup_id_z 0
		.amdhsa_system_sgpr_workgroup_info 0
		.amdhsa_system_vgpr_workitem_id 0
		.amdhsa_next_free_vgpr 17
		.amdhsa_next_free_sgpr 16
		.amdhsa_reserve_vcc 1
		.amdhsa_float_round_mode_32 0
		.amdhsa_float_round_mode_16_64 0
		.amdhsa_float_denorm_mode_32 3
		.amdhsa_float_denorm_mode_16_64 3
		.amdhsa_dx10_clamp 1
		.amdhsa_ieee_mode 1
		.amdhsa_fp16_overflow 0
		.amdhsa_workgroup_processor_mode 1
		.amdhsa_memory_ordered 1
		.amdhsa_forward_progress 0
		.amdhsa_shared_vgpr_count 0
		.amdhsa_exception_fp_ieee_invalid_op 0
		.amdhsa_exception_fp_denorm_src 0
		.amdhsa_exception_fp_ieee_div_zero 0
		.amdhsa_exception_fp_ieee_overflow 0
		.amdhsa_exception_fp_ieee_underflow 0
		.amdhsa_exception_fp_ieee_inexact 0
		.amdhsa_exception_int_div_zero 0
	.end_amdhsa_kernel
	.section	.text._Z16warp_load_kernelILj256ELj4ELj32ELN6hipcub17WarpLoadAlgorithmE2EdEvPT3_S3_,"axG",@progbits,_Z16warp_load_kernelILj256ELj4ELj32ELN6hipcub17WarpLoadAlgorithmE2EdEvPT3_S3_,comdat
.Lfunc_end21:
	.size	_Z16warp_load_kernelILj256ELj4ELj32ELN6hipcub17WarpLoadAlgorithmE2EdEvPT3_S3_, .Lfunc_end21-_Z16warp_load_kernelILj256ELj4ELj32ELN6hipcub17WarpLoadAlgorithmE2EdEvPT3_S3_
                                        ; -- End function
	.section	.AMDGPU.csdata,"",@progbits
; Kernel info:
; codeLenInByte = 292
; NumSgprs: 18
; NumVgprs: 17
; ScratchSize: 0
; MemoryBound: 0
; FloatMode: 240
; IeeeMode: 1
; LDSByteSize: 0 bytes/workgroup (compile time only)
; SGPRBlocks: 2
; VGPRBlocks: 2
; NumSGPRsForWavesPerEU: 18
; NumVGPRsForWavesPerEU: 17
; Occupancy: 16
; WaveLimiterHint : 0
; COMPUTE_PGM_RSRC2:SCRATCH_EN: 0
; COMPUTE_PGM_RSRC2:USER_SGPR: 15
; COMPUTE_PGM_RSRC2:TRAP_HANDLER: 0
; COMPUTE_PGM_RSRC2:TGID_X_EN: 1
; COMPUTE_PGM_RSRC2:TGID_Y_EN: 0
; COMPUTE_PGM_RSRC2:TGID_Z_EN: 0
; COMPUTE_PGM_RSRC2:TIDIG_COMP_CNT: 0
	.section	.text._Z16warp_load_kernelILj256ELj4ELj32ELN6hipcub17WarpLoadAlgorithmE3EdEvPT3_S3_,"axG",@progbits,_Z16warp_load_kernelILj256ELj4ELj32ELN6hipcub17WarpLoadAlgorithmE3EdEvPT3_S3_,comdat
	.protected	_Z16warp_load_kernelILj256ELj4ELj32ELN6hipcub17WarpLoadAlgorithmE3EdEvPT3_S3_ ; -- Begin function _Z16warp_load_kernelILj256ELj4ELj32ELN6hipcub17WarpLoadAlgorithmE3EdEvPT3_S3_
	.globl	_Z16warp_load_kernelILj256ELj4ELj32ELN6hipcub17WarpLoadAlgorithmE3EdEvPT3_S3_
	.p2align	8
	.type	_Z16warp_load_kernelILj256ELj4ELj32ELN6hipcub17WarpLoadAlgorithmE3EdEvPT3_S3_,@function
_Z16warp_load_kernelILj256ELj4ELj32ELN6hipcub17WarpLoadAlgorithmE3EdEvPT3_S3_: ; @_Z16warp_load_kernelILj256ELj4ELj32ELN6hipcub17WarpLoadAlgorithmE3EdEvPT3_S3_
; %bb.0:
	s_load_b128 s[0:3], s[0:1], 0x0
	v_lshrrev_b32_e32 v3, 5, v0
	s_lshl_b32 s4, s15, 10
	v_mbcnt_lo_u32_b32 v16, -1, 0
	v_mov_b32_e32 v5, 0
	s_delay_alu instid0(VALU_DEP_3) | instskip(SKIP_1) | instid1(VALU_DEP_3)
	v_lshl_or_b32 v4, v3, 7, s4
	v_lshlrev_b32_e32 v3, 10, v3
	v_dual_mov_b32 v13, v5 :: v_dual_lshlrev_b32 v12, 3, v16
	v_mov_b32_e32 v15, v5
	s_delay_alu instid0(VALU_DEP_4) | instskip(SKIP_1) | instid1(VALU_DEP_4)
	v_lshlrev_b64 v[1:2], 3, v[4:5]
	v_or_b32_e32 v4, s4, v0
	v_or_b32_e32 v0, v3, v12
	v_lshl_or_b32 v18, v16, 5, v3
	s_delay_alu instid0(VALU_DEP_3)
	v_or_b32_e32 v14, 0x200, v4
	v_lshlrev_b64 v[16:17], 3, v[4:5]
	s_waitcnt lgkmcnt(0)
	v_add_co_u32 v1, vcc_lo, s0, v1
	v_add_co_ci_u32_e32 v2, vcc_lo, s1, v2, vcc_lo
	v_lshlrev_b64 v[14:15], 3, v[14:15]
	s_delay_alu instid0(VALU_DEP_3) | instskip(NEXT) | instid1(VALU_DEP_3)
	v_add_co_u32 v1, vcc_lo, v1, v12
	v_add_co_ci_u32_e32 v2, vcc_lo, 0, v2, vcc_lo
	v_or_b32_e32 v12, 0x100, v4
	v_or_b32_e32 v4, 0x300, v4
	s_clause 0x3
	global_load_b64 v[6:7], v[1:2], off
	global_load_b64 v[8:9], v[1:2], off offset:256
	global_load_b64 v[10:11], v[1:2], off offset:512
	;; [unrolled: 1-line block ×3, first 2 shown]
	s_waitcnt vmcnt(2)
	ds_store_2addr_b64 v0, v[6:7], v[8:9] offset1:32
	s_waitcnt vmcnt(0)
	ds_store_2addr_b64 v0, v[10:11], v[1:2] offset0:64 offset1:96
	; wave barrier
	ds_load_b128 v[0:3], v18
	v_lshlrev_b64 v[8:9], 3, v[4:5]
	ds_load_b128 v[4:7], v18 offset:16
	v_lshlrev_b64 v[12:13], 3, v[12:13]
	v_add_co_u32 v10, vcc_lo, s2, v16
	v_add_co_ci_u32_e32 v11, vcc_lo, s3, v17, vcc_lo
	s_delay_alu instid0(VALU_DEP_3) | instskip(NEXT) | instid1(VALU_DEP_4)
	v_add_co_u32 v12, vcc_lo, s2, v12
	v_add_co_ci_u32_e32 v13, vcc_lo, s3, v13, vcc_lo
	v_add_co_u32 v14, vcc_lo, s2, v14
	v_add_co_ci_u32_e32 v15, vcc_lo, s3, v15, vcc_lo
	;; [unrolled: 2-line block ×3, first 2 shown]
	s_waitcnt lgkmcnt(1)
	s_clause 0x1
	global_store_b64 v[10:11], v[0:1], off
	global_store_b64 v[12:13], v[2:3], off
	s_waitcnt lgkmcnt(0)
	s_clause 0x1
	global_store_b64 v[14:15], v[4:5], off
	global_store_b64 v[8:9], v[6:7], off
	s_nop 0
	s_sendmsg sendmsg(MSG_DEALLOC_VGPRS)
	s_endpgm
	.section	.rodata,"a",@progbits
	.p2align	6, 0x0
	.amdhsa_kernel _Z16warp_load_kernelILj256ELj4ELj32ELN6hipcub17WarpLoadAlgorithmE3EdEvPT3_S3_
		.amdhsa_group_segment_fixed_size 8192
		.amdhsa_private_segment_fixed_size 0
		.amdhsa_kernarg_size 16
		.amdhsa_user_sgpr_count 15
		.amdhsa_user_sgpr_dispatch_ptr 0
		.amdhsa_user_sgpr_queue_ptr 0
		.amdhsa_user_sgpr_kernarg_segment_ptr 1
		.amdhsa_user_sgpr_dispatch_id 0
		.amdhsa_user_sgpr_private_segment_size 0
		.amdhsa_wavefront_size32 1
		.amdhsa_uses_dynamic_stack 0
		.amdhsa_enable_private_segment 0
		.amdhsa_system_sgpr_workgroup_id_x 1
		.amdhsa_system_sgpr_workgroup_id_y 0
		.amdhsa_system_sgpr_workgroup_id_z 0
		.amdhsa_system_sgpr_workgroup_info 0
		.amdhsa_system_vgpr_workitem_id 0
		.amdhsa_next_free_vgpr 19
		.amdhsa_next_free_sgpr 16
		.amdhsa_reserve_vcc 1
		.amdhsa_float_round_mode_32 0
		.amdhsa_float_round_mode_16_64 0
		.amdhsa_float_denorm_mode_32 3
		.amdhsa_float_denorm_mode_16_64 3
		.amdhsa_dx10_clamp 1
		.amdhsa_ieee_mode 1
		.amdhsa_fp16_overflow 0
		.amdhsa_workgroup_processor_mode 1
		.amdhsa_memory_ordered 1
		.amdhsa_forward_progress 0
		.amdhsa_shared_vgpr_count 0
		.amdhsa_exception_fp_ieee_invalid_op 0
		.amdhsa_exception_fp_denorm_src 0
		.amdhsa_exception_fp_ieee_div_zero 0
		.amdhsa_exception_fp_ieee_overflow 0
		.amdhsa_exception_fp_ieee_underflow 0
		.amdhsa_exception_fp_ieee_inexact 0
		.amdhsa_exception_int_div_zero 0
	.end_amdhsa_kernel
	.section	.text._Z16warp_load_kernelILj256ELj4ELj32ELN6hipcub17WarpLoadAlgorithmE3EdEvPT3_S3_,"axG",@progbits,_Z16warp_load_kernelILj256ELj4ELj32ELN6hipcub17WarpLoadAlgorithmE3EdEvPT3_S3_,comdat
.Lfunc_end22:
	.size	_Z16warp_load_kernelILj256ELj4ELj32ELN6hipcub17WarpLoadAlgorithmE3EdEvPT3_S3_, .Lfunc_end22-_Z16warp_load_kernelILj256ELj4ELj32ELN6hipcub17WarpLoadAlgorithmE3EdEvPT3_S3_
                                        ; -- End function
	.section	.AMDGPU.csdata,"",@progbits
; Kernel info:
; codeLenInByte = 364
; NumSgprs: 18
; NumVgprs: 19
; ScratchSize: 0
; MemoryBound: 1
; FloatMode: 240
; IeeeMode: 1
; LDSByteSize: 8192 bytes/workgroup (compile time only)
; SGPRBlocks: 2
; VGPRBlocks: 2
; NumSGPRsForWavesPerEU: 18
; NumVGPRsForWavesPerEU: 19
; Occupancy: 16
; WaveLimiterHint : 1
; COMPUTE_PGM_RSRC2:SCRATCH_EN: 0
; COMPUTE_PGM_RSRC2:USER_SGPR: 15
; COMPUTE_PGM_RSRC2:TRAP_HANDLER: 0
; COMPUTE_PGM_RSRC2:TGID_X_EN: 1
; COMPUTE_PGM_RSRC2:TGID_Y_EN: 0
; COMPUTE_PGM_RSRC2:TGID_Z_EN: 0
; COMPUTE_PGM_RSRC2:TIDIG_COMP_CNT: 0
	.section	.text._Z16warp_load_kernelILj256ELj8ELj32ELN6hipcub17WarpLoadAlgorithmE0EdEvPT3_S3_,"axG",@progbits,_Z16warp_load_kernelILj256ELj8ELj32ELN6hipcub17WarpLoadAlgorithmE0EdEvPT3_S3_,comdat
	.protected	_Z16warp_load_kernelILj256ELj8ELj32ELN6hipcub17WarpLoadAlgorithmE0EdEvPT3_S3_ ; -- Begin function _Z16warp_load_kernelILj256ELj8ELj32ELN6hipcub17WarpLoadAlgorithmE0EdEvPT3_S3_
	.globl	_Z16warp_load_kernelILj256ELj8ELj32ELN6hipcub17WarpLoadAlgorithmE0EdEvPT3_S3_
	.p2align	8
	.type	_Z16warp_load_kernelILj256ELj8ELj32ELN6hipcub17WarpLoadAlgorithmE0EdEvPT3_S3_,@function
_Z16warp_load_kernelILj256ELj8ELj32ELN6hipcub17WarpLoadAlgorithmE0EdEvPT3_S3_: ; @_Z16warp_load_kernelILj256ELj8ELj32ELN6hipcub17WarpLoadAlgorithmE0EdEvPT3_S3_
; %bb.0:
	s_load_b128 s[0:3], s[0:1], 0x0
	v_dual_mov_b32 v18, 0 :: v_dual_lshlrev_b32 v1, 3, v0
	s_lshl_b32 s4, s15, 11
	v_mbcnt_lo_u32_b32 v3, -1, 0
	s_delay_alu instid0(VALU_DEP_2) | instskip(NEXT) | instid1(VALU_DEP_3)
	v_and_or_b32 v17, 0x700, v1, s4
	v_mov_b32_e32 v20, v18
	s_delay_alu instid0(VALU_DEP_3) | instskip(SKIP_1) | instid1(VALU_DEP_4)
	v_dual_mov_b32 v22, v18 :: v_dual_lshlrev_b32 v3, 6, v3
	v_mov_b32_e32 v24, v18
	v_lshlrev_b64 v[1:2], 3, v[17:18]
	v_or_b32_e32 v17, s4, v0
	v_mov_b32_e32 v26, v18
	v_mov_b32_e32 v28, v18
	s_delay_alu instid0(VALU_DEP_3)
	v_or_b32_e32 v19, 0x200, v17
	v_lshlrev_b64 v[29:30], 3, v[17:18]
	v_or_b32_e32 v21, 0x300, v17
	s_waitcnt lgkmcnt(0)
	v_add_co_u32 v1, vcc_lo, s0, v1
	v_add_co_ci_u32_e32 v2, vcc_lo, s1, v2, vcc_lo
	v_lshlrev_b64 v[19:20], 3, v[19:20]
	s_delay_alu instid0(VALU_DEP_3) | instskip(NEXT) | instid1(VALU_DEP_3)
	v_add_co_u32 v13, vcc_lo, v1, v3
	v_add_co_ci_u32_e32 v14, vcc_lo, 0, v2, vcc_lo
	v_or_b32_e32 v23, 0x400, v17
	v_lshlrev_b64 v[21:22], 3, v[21:22]
	v_add_co_u32 v29, vcc_lo, s2, v29
	s_clause 0x3
	global_load_b128 v[1:4], v[13:14], off
	global_load_b128 v[5:8], v[13:14], off offset:16
	global_load_b128 v[9:12], v[13:14], off offset:32
	;; [unrolled: 1-line block ×3, first 2 shown]
	v_or_b32_e32 v25, 0x500, v17
	v_add_co_ci_u32_e32 v30, vcc_lo, s3, v30, vcc_lo
	v_lshlrev_b64 v[23:24], 3, v[23:24]
	v_add_co_u32 v19, vcc_lo, s2, v19
	v_or_b32_e32 v27, 0x600, v17
	v_add_co_ci_u32_e32 v20, vcc_lo, s3, v20, vcc_lo
	v_lshlrev_b64 v[25:26], 3, v[25:26]
	v_add_co_u32 v21, vcc_lo, s2, v21
	;; [unrolled: 4-line block ×3, first 2 shown]
	v_add_co_ci_u32_e32 v24, vcc_lo, s3, v24, vcc_lo
	v_lshlrev_b64 v[17:18], 3, v[17:18]
	v_add_co_u32 v25, vcc_lo, s2, v25
	v_add_co_ci_u32_e32 v26, vcc_lo, s3, v26, vcc_lo
	v_add_co_u32 v27, vcc_lo, s2, v27
	v_add_co_ci_u32_e32 v28, vcc_lo, s3, v28, vcc_lo
	;; [unrolled: 2-line block ×3, first 2 shown]
	s_waitcnt vmcnt(3)
	s_clause 0x1
	global_store_b64 v[29:30], v[1:2], off
	global_store_b64 v[29:30], v[3:4], off offset:2048
	s_waitcnt vmcnt(2)
	s_clause 0x1
	global_store_b64 v[19:20], v[5:6], off
	global_store_b64 v[21:22], v[7:8], off
	s_waitcnt vmcnt(1)
	s_clause 0x1
	global_store_b64 v[23:24], v[9:10], off
	global_store_b64 v[25:26], v[11:12], off
	s_waitcnt vmcnt(0)
	s_clause 0x1
	global_store_b64 v[27:28], v[13:14], off
	global_store_b64 v[17:18], v[15:16], off
	s_nop 0
	s_sendmsg sendmsg(MSG_DEALLOC_VGPRS)
	s_endpgm
	.section	.rodata,"a",@progbits
	.p2align	6, 0x0
	.amdhsa_kernel _Z16warp_load_kernelILj256ELj8ELj32ELN6hipcub17WarpLoadAlgorithmE0EdEvPT3_S3_
		.amdhsa_group_segment_fixed_size 0
		.amdhsa_private_segment_fixed_size 0
		.amdhsa_kernarg_size 16
		.amdhsa_user_sgpr_count 15
		.amdhsa_user_sgpr_dispatch_ptr 0
		.amdhsa_user_sgpr_queue_ptr 0
		.amdhsa_user_sgpr_kernarg_segment_ptr 1
		.amdhsa_user_sgpr_dispatch_id 0
		.amdhsa_user_sgpr_private_segment_size 0
		.amdhsa_wavefront_size32 1
		.amdhsa_uses_dynamic_stack 0
		.amdhsa_enable_private_segment 0
		.amdhsa_system_sgpr_workgroup_id_x 1
		.amdhsa_system_sgpr_workgroup_id_y 0
		.amdhsa_system_sgpr_workgroup_id_z 0
		.amdhsa_system_sgpr_workgroup_info 0
		.amdhsa_system_vgpr_workitem_id 0
		.amdhsa_next_free_vgpr 31
		.amdhsa_next_free_sgpr 16
		.amdhsa_reserve_vcc 1
		.amdhsa_float_round_mode_32 0
		.amdhsa_float_round_mode_16_64 0
		.amdhsa_float_denorm_mode_32 3
		.amdhsa_float_denorm_mode_16_64 3
		.amdhsa_dx10_clamp 1
		.amdhsa_ieee_mode 1
		.amdhsa_fp16_overflow 0
		.amdhsa_workgroup_processor_mode 1
		.amdhsa_memory_ordered 1
		.amdhsa_forward_progress 0
		.amdhsa_shared_vgpr_count 0
		.amdhsa_exception_fp_ieee_invalid_op 0
		.amdhsa_exception_fp_denorm_src 0
		.amdhsa_exception_fp_ieee_div_zero 0
		.amdhsa_exception_fp_ieee_overflow 0
		.amdhsa_exception_fp_ieee_underflow 0
		.amdhsa_exception_fp_ieee_inexact 0
		.amdhsa_exception_int_div_zero 0
	.end_amdhsa_kernel
	.section	.text._Z16warp_load_kernelILj256ELj8ELj32ELN6hipcub17WarpLoadAlgorithmE0EdEvPT3_S3_,"axG",@progbits,_Z16warp_load_kernelILj256ELj8ELj32ELN6hipcub17WarpLoadAlgorithmE0EdEvPT3_S3_,comdat
.Lfunc_end23:
	.size	_Z16warp_load_kernelILj256ELj8ELj32ELN6hipcub17WarpLoadAlgorithmE0EdEvPT3_S3_, .Lfunc_end23-_Z16warp_load_kernelILj256ELj8ELj32ELN6hipcub17WarpLoadAlgorithmE0EdEvPT3_S3_
                                        ; -- End function
	.section	.AMDGPU.csdata,"",@progbits
; Kernel info:
; codeLenInByte = 452
; NumSgprs: 18
; NumVgprs: 31
; ScratchSize: 0
; MemoryBound: 0
; FloatMode: 240
; IeeeMode: 1
; LDSByteSize: 0 bytes/workgroup (compile time only)
; SGPRBlocks: 2
; VGPRBlocks: 3
; NumSGPRsForWavesPerEU: 18
; NumVGPRsForWavesPerEU: 31
; Occupancy: 16
; WaveLimiterHint : 1
; COMPUTE_PGM_RSRC2:SCRATCH_EN: 0
; COMPUTE_PGM_RSRC2:USER_SGPR: 15
; COMPUTE_PGM_RSRC2:TRAP_HANDLER: 0
; COMPUTE_PGM_RSRC2:TGID_X_EN: 1
; COMPUTE_PGM_RSRC2:TGID_Y_EN: 0
; COMPUTE_PGM_RSRC2:TGID_Z_EN: 0
; COMPUTE_PGM_RSRC2:TIDIG_COMP_CNT: 0
	.section	.text._Z16warp_load_kernelILj256ELj8ELj32ELN6hipcub17WarpLoadAlgorithmE1EdEvPT3_S3_,"axG",@progbits,_Z16warp_load_kernelILj256ELj8ELj32ELN6hipcub17WarpLoadAlgorithmE1EdEvPT3_S3_,comdat
	.protected	_Z16warp_load_kernelILj256ELj8ELj32ELN6hipcub17WarpLoadAlgorithmE1EdEvPT3_S3_ ; -- Begin function _Z16warp_load_kernelILj256ELj8ELj32ELN6hipcub17WarpLoadAlgorithmE1EdEvPT3_S3_
	.globl	_Z16warp_load_kernelILj256ELj8ELj32ELN6hipcub17WarpLoadAlgorithmE1EdEvPT3_S3_
	.p2align	8
	.type	_Z16warp_load_kernelILj256ELj8ELj32ELN6hipcub17WarpLoadAlgorithmE1EdEvPT3_S3_,@function
_Z16warp_load_kernelILj256ELj8ELj32ELN6hipcub17WarpLoadAlgorithmE1EdEvPT3_S3_: ; @_Z16warp_load_kernelILj256ELj8ELj32ELN6hipcub17WarpLoadAlgorithmE1EdEvPT3_S3_
; %bb.0:
	s_load_b128 s[0:3], s[0:1], 0x0
	v_dual_mov_b32 v2, 0 :: v_dual_lshlrev_b32 v1, 3, v0
	s_lshl_b32 s4, s15, 11
	v_mbcnt_lo_u32_b32 v5, -1, 0
	s_delay_alu instid0(VALU_DEP_2) | instskip(NEXT) | instid1(VALU_DEP_3)
	v_and_or_b32 v1, 0x700, v1, s4
	v_mov_b32_e32 v22, v2
	v_mov_b32_e32 v24, v2
	;; [unrolled: 1-line block ×4, first 2 shown]
	v_lshlrev_b64 v[3:4], 3, v[1:2]
	v_dual_mov_b32 v28, v2 :: v_dual_lshlrev_b32 v1, 3, v5
	s_waitcnt lgkmcnt(0)
	s_delay_alu instid0(VALU_DEP_2) | instskip(NEXT) | instid1(VALU_DEP_3)
	v_add_co_u32 v3, vcc_lo, s0, v3
	v_add_co_ci_u32_e32 v4, vcc_lo, s1, v4, vcc_lo
	s_delay_alu instid0(VALU_DEP_2) | instskip(NEXT) | instid1(VALU_DEP_2)
	v_add_co_u32 v3, vcc_lo, v3, v1
	v_add_co_ci_u32_e32 v4, vcc_lo, 0, v4, vcc_lo
	v_or_b32_e32 v1, s4, v0
	s_clause 0x7
	global_load_b64 v[5:6], v[3:4], off
	global_load_b64 v[7:8], v[3:4], off offset:256
	global_load_b64 v[9:10], v[3:4], off offset:512
	;; [unrolled: 1-line block ×7, first 2 shown]
	v_or_b32_e32 v19, 0x200, v1
	v_lshlrev_b64 v[29:30], 3, v[1:2]
	v_or_b32_e32 v21, 0x300, v1
	v_or_b32_e32 v23, 0x400, v1
	;; [unrolled: 1-line block ×3, first 2 shown]
	v_lshlrev_b64 v[19:20], 3, v[19:20]
	v_or_b32_e32 v27, 0x600, v1
	v_lshlrev_b64 v[21:22], 3, v[21:22]
	v_add_co_u32 v29, vcc_lo, s2, v29
	v_add_co_ci_u32_e32 v30, vcc_lo, s3, v30, vcc_lo
	v_lshlrev_b64 v[23:24], 3, v[23:24]
	v_add_co_u32 v19, vcc_lo, s2, v19
	v_add_co_ci_u32_e32 v20, vcc_lo, s3, v20, vcc_lo
	v_lshlrev_b64 v[25:26], 3, v[25:26]
	v_add_co_u32 v21, vcc_lo, s2, v21
	v_or_b32_e32 v1, 0x700, v1
	v_add_co_ci_u32_e32 v22, vcc_lo, s3, v22, vcc_lo
	v_lshlrev_b64 v[27:28], 3, v[27:28]
	v_add_co_u32 v23, vcc_lo, s2, v23
	v_add_co_ci_u32_e32 v24, vcc_lo, s3, v24, vcc_lo
	v_lshlrev_b64 v[0:1], 3, v[1:2]
	v_add_co_u32 v25, vcc_lo, s2, v25
	v_add_co_ci_u32_e32 v26, vcc_lo, s3, v26, vcc_lo
	v_add_co_u32 v27, vcc_lo, s2, v27
	v_add_co_ci_u32_e32 v28, vcc_lo, s3, v28, vcc_lo
	;; [unrolled: 2-line block ×3, first 2 shown]
	s_waitcnt vmcnt(7)
	global_store_b64 v[29:30], v[5:6], off
	s_waitcnt vmcnt(6)
	global_store_b64 v[29:30], v[7:8], off offset:2048
	s_waitcnt vmcnt(5)
	global_store_b64 v[19:20], v[9:10], off
	s_waitcnt vmcnt(4)
	global_store_b64 v[21:22], v[11:12], off
	;; [unrolled: 2-line block ×6, first 2 shown]
	s_nop 0
	s_sendmsg sendmsg(MSG_DEALLOC_VGPRS)
	s_endpgm
	.section	.rodata,"a",@progbits
	.p2align	6, 0x0
	.amdhsa_kernel _Z16warp_load_kernelILj256ELj8ELj32ELN6hipcub17WarpLoadAlgorithmE1EdEvPT3_S3_
		.amdhsa_group_segment_fixed_size 0
		.amdhsa_private_segment_fixed_size 0
		.amdhsa_kernarg_size 16
		.amdhsa_user_sgpr_count 15
		.amdhsa_user_sgpr_dispatch_ptr 0
		.amdhsa_user_sgpr_queue_ptr 0
		.amdhsa_user_sgpr_kernarg_segment_ptr 1
		.amdhsa_user_sgpr_dispatch_id 0
		.amdhsa_user_sgpr_private_segment_size 0
		.amdhsa_wavefront_size32 1
		.amdhsa_uses_dynamic_stack 0
		.amdhsa_enable_private_segment 0
		.amdhsa_system_sgpr_workgroup_id_x 1
		.amdhsa_system_sgpr_workgroup_id_y 0
		.amdhsa_system_sgpr_workgroup_id_z 0
		.amdhsa_system_sgpr_workgroup_info 0
		.amdhsa_system_vgpr_workitem_id 0
		.amdhsa_next_free_vgpr 31
		.amdhsa_next_free_sgpr 16
		.amdhsa_reserve_vcc 1
		.amdhsa_float_round_mode_32 0
		.amdhsa_float_round_mode_16_64 0
		.amdhsa_float_denorm_mode_32 3
		.amdhsa_float_denorm_mode_16_64 3
		.amdhsa_dx10_clamp 1
		.amdhsa_ieee_mode 1
		.amdhsa_fp16_overflow 0
		.amdhsa_workgroup_processor_mode 1
		.amdhsa_memory_ordered 1
		.amdhsa_forward_progress 0
		.amdhsa_shared_vgpr_count 0
		.amdhsa_exception_fp_ieee_invalid_op 0
		.amdhsa_exception_fp_denorm_src 0
		.amdhsa_exception_fp_ieee_div_zero 0
		.amdhsa_exception_fp_ieee_overflow 0
		.amdhsa_exception_fp_ieee_underflow 0
		.amdhsa_exception_fp_ieee_inexact 0
		.amdhsa_exception_int_div_zero 0
	.end_amdhsa_kernel
	.section	.text._Z16warp_load_kernelILj256ELj8ELj32ELN6hipcub17WarpLoadAlgorithmE1EdEvPT3_S3_,"axG",@progbits,_Z16warp_load_kernelILj256ELj8ELj32ELN6hipcub17WarpLoadAlgorithmE1EdEvPT3_S3_,comdat
.Lfunc_end24:
	.size	_Z16warp_load_kernelILj256ELj8ELj32ELN6hipcub17WarpLoadAlgorithmE1EdEvPT3_S3_, .Lfunc_end24-_Z16warp_load_kernelILj256ELj8ELj32ELN6hipcub17WarpLoadAlgorithmE1EdEvPT3_S3_
                                        ; -- End function
	.section	.AMDGPU.csdata,"",@progbits
; Kernel info:
; codeLenInByte = 480
; NumSgprs: 18
; NumVgprs: 31
; ScratchSize: 0
; MemoryBound: 1
; FloatMode: 240
; IeeeMode: 1
; LDSByteSize: 0 bytes/workgroup (compile time only)
; SGPRBlocks: 2
; VGPRBlocks: 3
; NumSGPRsForWavesPerEU: 18
; NumVGPRsForWavesPerEU: 31
; Occupancy: 16
; WaveLimiterHint : 1
; COMPUTE_PGM_RSRC2:SCRATCH_EN: 0
; COMPUTE_PGM_RSRC2:USER_SGPR: 15
; COMPUTE_PGM_RSRC2:TRAP_HANDLER: 0
; COMPUTE_PGM_RSRC2:TGID_X_EN: 1
; COMPUTE_PGM_RSRC2:TGID_Y_EN: 0
; COMPUTE_PGM_RSRC2:TGID_Z_EN: 0
; COMPUTE_PGM_RSRC2:TIDIG_COMP_CNT: 0
	.section	.text._Z16warp_load_kernelILj256ELj8ELj32ELN6hipcub17WarpLoadAlgorithmE2EdEvPT3_S3_,"axG",@progbits,_Z16warp_load_kernelILj256ELj8ELj32ELN6hipcub17WarpLoadAlgorithmE2EdEvPT3_S3_,comdat
	.protected	_Z16warp_load_kernelILj256ELj8ELj32ELN6hipcub17WarpLoadAlgorithmE2EdEvPT3_S3_ ; -- Begin function _Z16warp_load_kernelILj256ELj8ELj32ELN6hipcub17WarpLoadAlgorithmE2EdEvPT3_S3_
	.globl	_Z16warp_load_kernelILj256ELj8ELj32ELN6hipcub17WarpLoadAlgorithmE2EdEvPT3_S3_
	.p2align	8
	.type	_Z16warp_load_kernelILj256ELj8ELj32ELN6hipcub17WarpLoadAlgorithmE2EdEvPT3_S3_,@function
_Z16warp_load_kernelILj256ELj8ELj32ELN6hipcub17WarpLoadAlgorithmE2EdEvPT3_S3_: ; @_Z16warp_load_kernelILj256ELj8ELj32ELN6hipcub17WarpLoadAlgorithmE2EdEvPT3_S3_
; %bb.0:
	s_load_b128 s[0:3], s[0:1], 0x0
	v_dual_mov_b32 v18, 0 :: v_dual_lshlrev_b32 v1, 3, v0
	s_lshl_b32 s4, s15, 11
	v_mbcnt_lo_u32_b32 v3, -1, 0
	s_delay_alu instid0(VALU_DEP_2) | instskip(NEXT) | instid1(VALU_DEP_3)
	v_and_or_b32 v17, 0x700, v1, s4
	v_mov_b32_e32 v20, v18
	s_delay_alu instid0(VALU_DEP_3) | instskip(SKIP_1) | instid1(VALU_DEP_4)
	v_dual_mov_b32 v22, v18 :: v_dual_lshlrev_b32 v3, 6, v3
	v_mov_b32_e32 v24, v18
	v_lshlrev_b64 v[1:2], 3, v[17:18]
	v_or_b32_e32 v17, s4, v0
	v_mov_b32_e32 v26, v18
	v_mov_b32_e32 v28, v18
	s_delay_alu instid0(VALU_DEP_3)
	v_or_b32_e32 v19, 0x200, v17
	v_lshlrev_b64 v[29:30], 3, v[17:18]
	v_or_b32_e32 v21, 0x300, v17
	s_waitcnt lgkmcnt(0)
	v_add_co_u32 v1, vcc_lo, s0, v1
	v_add_co_ci_u32_e32 v2, vcc_lo, s1, v2, vcc_lo
	v_lshlrev_b64 v[19:20], 3, v[19:20]
	s_delay_alu instid0(VALU_DEP_3) | instskip(NEXT) | instid1(VALU_DEP_3)
	v_add_co_u32 v13, vcc_lo, v1, v3
	v_add_co_ci_u32_e32 v14, vcc_lo, 0, v2, vcc_lo
	v_or_b32_e32 v23, 0x400, v17
	v_lshlrev_b64 v[21:22], 3, v[21:22]
	v_add_co_u32 v29, vcc_lo, s2, v29
	s_clause 0x3
	global_load_b128 v[1:4], v[13:14], off
	global_load_b128 v[5:8], v[13:14], off offset:16
	global_load_b128 v[9:12], v[13:14], off offset:32
	;; [unrolled: 1-line block ×3, first 2 shown]
	v_or_b32_e32 v25, 0x500, v17
	v_add_co_ci_u32_e32 v30, vcc_lo, s3, v30, vcc_lo
	v_lshlrev_b64 v[23:24], 3, v[23:24]
	v_add_co_u32 v19, vcc_lo, s2, v19
	v_or_b32_e32 v27, 0x600, v17
	v_add_co_ci_u32_e32 v20, vcc_lo, s3, v20, vcc_lo
	v_lshlrev_b64 v[25:26], 3, v[25:26]
	v_add_co_u32 v21, vcc_lo, s2, v21
	;; [unrolled: 4-line block ×3, first 2 shown]
	v_add_co_ci_u32_e32 v24, vcc_lo, s3, v24, vcc_lo
	v_lshlrev_b64 v[17:18], 3, v[17:18]
	v_add_co_u32 v25, vcc_lo, s2, v25
	v_add_co_ci_u32_e32 v26, vcc_lo, s3, v26, vcc_lo
	v_add_co_u32 v27, vcc_lo, s2, v27
	v_add_co_ci_u32_e32 v28, vcc_lo, s3, v28, vcc_lo
	;; [unrolled: 2-line block ×3, first 2 shown]
	s_waitcnt vmcnt(3)
	s_clause 0x1
	global_store_b64 v[29:30], v[1:2], off
	global_store_b64 v[29:30], v[3:4], off offset:2048
	s_waitcnt vmcnt(2)
	s_clause 0x1
	global_store_b64 v[19:20], v[5:6], off
	global_store_b64 v[21:22], v[7:8], off
	s_waitcnt vmcnt(1)
	s_clause 0x1
	global_store_b64 v[23:24], v[9:10], off
	global_store_b64 v[25:26], v[11:12], off
	;; [unrolled: 4-line block ×3, first 2 shown]
	s_nop 0
	s_sendmsg sendmsg(MSG_DEALLOC_VGPRS)
	s_endpgm
	.section	.rodata,"a",@progbits
	.p2align	6, 0x0
	.amdhsa_kernel _Z16warp_load_kernelILj256ELj8ELj32ELN6hipcub17WarpLoadAlgorithmE2EdEvPT3_S3_
		.amdhsa_group_segment_fixed_size 0
		.amdhsa_private_segment_fixed_size 0
		.amdhsa_kernarg_size 16
		.amdhsa_user_sgpr_count 15
		.amdhsa_user_sgpr_dispatch_ptr 0
		.amdhsa_user_sgpr_queue_ptr 0
		.amdhsa_user_sgpr_kernarg_segment_ptr 1
		.amdhsa_user_sgpr_dispatch_id 0
		.amdhsa_user_sgpr_private_segment_size 0
		.amdhsa_wavefront_size32 1
		.amdhsa_uses_dynamic_stack 0
		.amdhsa_enable_private_segment 0
		.amdhsa_system_sgpr_workgroup_id_x 1
		.amdhsa_system_sgpr_workgroup_id_y 0
		.amdhsa_system_sgpr_workgroup_id_z 0
		.amdhsa_system_sgpr_workgroup_info 0
		.amdhsa_system_vgpr_workitem_id 0
		.amdhsa_next_free_vgpr 31
		.amdhsa_next_free_sgpr 16
		.amdhsa_reserve_vcc 1
		.amdhsa_float_round_mode_32 0
		.amdhsa_float_round_mode_16_64 0
		.amdhsa_float_denorm_mode_32 3
		.amdhsa_float_denorm_mode_16_64 3
		.amdhsa_dx10_clamp 1
		.amdhsa_ieee_mode 1
		.amdhsa_fp16_overflow 0
		.amdhsa_workgroup_processor_mode 1
		.amdhsa_memory_ordered 1
		.amdhsa_forward_progress 0
		.amdhsa_shared_vgpr_count 0
		.amdhsa_exception_fp_ieee_invalid_op 0
		.amdhsa_exception_fp_denorm_src 0
		.amdhsa_exception_fp_ieee_div_zero 0
		.amdhsa_exception_fp_ieee_overflow 0
		.amdhsa_exception_fp_ieee_underflow 0
		.amdhsa_exception_fp_ieee_inexact 0
		.amdhsa_exception_int_div_zero 0
	.end_amdhsa_kernel
	.section	.text._Z16warp_load_kernelILj256ELj8ELj32ELN6hipcub17WarpLoadAlgorithmE2EdEvPT3_S3_,"axG",@progbits,_Z16warp_load_kernelILj256ELj8ELj32ELN6hipcub17WarpLoadAlgorithmE2EdEvPT3_S3_,comdat
.Lfunc_end25:
	.size	_Z16warp_load_kernelILj256ELj8ELj32ELN6hipcub17WarpLoadAlgorithmE2EdEvPT3_S3_, .Lfunc_end25-_Z16warp_load_kernelILj256ELj8ELj32ELN6hipcub17WarpLoadAlgorithmE2EdEvPT3_S3_
                                        ; -- End function
	.section	.AMDGPU.csdata,"",@progbits
; Kernel info:
; codeLenInByte = 452
; NumSgprs: 18
; NumVgprs: 31
; ScratchSize: 0
; MemoryBound: 0
; FloatMode: 240
; IeeeMode: 1
; LDSByteSize: 0 bytes/workgroup (compile time only)
; SGPRBlocks: 2
; VGPRBlocks: 3
; NumSGPRsForWavesPerEU: 18
; NumVGPRsForWavesPerEU: 31
; Occupancy: 16
; WaveLimiterHint : 1
; COMPUTE_PGM_RSRC2:SCRATCH_EN: 0
; COMPUTE_PGM_RSRC2:USER_SGPR: 15
; COMPUTE_PGM_RSRC2:TRAP_HANDLER: 0
; COMPUTE_PGM_RSRC2:TGID_X_EN: 1
; COMPUTE_PGM_RSRC2:TGID_Y_EN: 0
; COMPUTE_PGM_RSRC2:TGID_Z_EN: 0
; COMPUTE_PGM_RSRC2:TIDIG_COMP_CNT: 0
	.section	.text._Z16warp_load_kernelILj256ELj8ELj32ELN6hipcub17WarpLoadAlgorithmE3EdEvPT3_S3_,"axG",@progbits,_Z16warp_load_kernelILj256ELj8ELj32ELN6hipcub17WarpLoadAlgorithmE3EdEvPT3_S3_,comdat
	.protected	_Z16warp_load_kernelILj256ELj8ELj32ELN6hipcub17WarpLoadAlgorithmE3EdEvPT3_S3_ ; -- Begin function _Z16warp_load_kernelILj256ELj8ELj32ELN6hipcub17WarpLoadAlgorithmE3EdEvPT3_S3_
	.globl	_Z16warp_load_kernelILj256ELj8ELj32ELN6hipcub17WarpLoadAlgorithmE3EdEvPT3_S3_
	.p2align	8
	.type	_Z16warp_load_kernelILj256ELj8ELj32ELN6hipcub17WarpLoadAlgorithmE3EdEvPT3_S3_,@function
_Z16warp_load_kernelILj256ELj8ELj32ELN6hipcub17WarpLoadAlgorithmE3EdEvPT3_S3_: ; @_Z16warp_load_kernelILj256ELj8ELj32ELN6hipcub17WarpLoadAlgorithmE3EdEvPT3_S3_
; %bb.0:
	s_load_b128 s[0:3], s[0:1], 0x0
	v_lshrrev_b32_e32 v19, 5, v0
	s_lshl_b32 s4, s15, 11
	v_mbcnt_lo_u32_b32 v21, -1, 0
	v_mov_b32_e32 v2, 0
	s_delay_alu instid0(VALU_DEP_3) | instskip(SKIP_1) | instid1(VALU_DEP_3)
	v_lshl_or_b32 v1, v19, 8, s4
	v_lshlrev_b32_e32 v19, 11, v19
	v_dual_mov_b32 v20, v2 :: v_dual_lshlrev_b32 v23, 3, v21
	v_mov_b32_e32 v22, v2
	s_delay_alu instid0(VALU_DEP_4) | instskip(NEXT) | instid1(VALU_DEP_4)
	v_lshlrev_b64 v[3:4], 3, v[1:2]
	v_lshl_or_b32 v33, v21, 6, v19
	v_mov_b32_e32 v24, v2
	v_mov_b32_e32 v26, v2
	;; [unrolled: 1-line block ×3, first 2 shown]
	s_waitcnt lgkmcnt(0)
	v_add_co_u32 v1, vcc_lo, s0, v3
	v_add_co_ci_u32_e32 v4, vcc_lo, s1, v4, vcc_lo
	s_delay_alu instid0(VALU_DEP_2) | instskip(NEXT) | instid1(VALU_DEP_2)
	v_add_co_u32 v3, vcc_lo, v1, v23
	v_add_co_ci_u32_e32 v4, vcc_lo, 0, v4, vcc_lo
	v_or_b32_e32 v1, s4, v0
	v_or_b32_e32 v0, v19, v23
	s_clause 0x7
	global_load_b64 v[5:6], v[3:4], off
	global_load_b64 v[7:8], v[3:4], off offset:256
	global_load_b64 v[9:10], v[3:4], off offset:512
	;; [unrolled: 1-line block ×7, first 2 shown]
	s_waitcnt vmcnt(6)
	ds_store_2addr_b64 v0, v[5:6], v[7:8] offset1:32
	s_waitcnt vmcnt(4)
	ds_store_2addr_b64 v0, v[9:10], v[11:12] offset0:64 offset1:96
	s_waitcnt vmcnt(2)
	ds_store_2addr_b64 v0, v[13:14], v[15:16] offset0:128 offset1:160
	;; [unrolled: 2-line block ×3, first 2 shown]
	v_or_b32_e32 v19, 0x200, v1
	v_lshlrev_b64 v[29:30], 3, v[1:2]
	v_or_b32_e32 v21, 0x300, v1
	v_or_b32_e32 v23, 0x400, v1
	;; [unrolled: 1-line block ×5, first 2 shown]
	v_lshlrev_b64 v[19:20], 3, v[19:20]
	v_lshlrev_b64 v[21:22], 3, v[21:22]
	v_add_co_u32 v29, vcc_lo, s2, v29
	s_delay_alu instid0(VALU_DEP_4)
	v_lshlrev_b64 v[31:32], 3, v[1:2]
	; wave barrier
	ds_load_b128 v[0:3], v33
	ds_load_b128 v[4:7], v33 offset:16
	ds_load_b128 v[8:11], v33 offset:32
	;; [unrolled: 1-line block ×3, first 2 shown]
	v_add_co_ci_u32_e32 v30, vcc_lo, s3, v30, vcc_lo
	v_lshlrev_b64 v[23:24], 3, v[23:24]
	v_add_co_u32 v19, vcc_lo, s2, v19
	v_add_co_ci_u32_e32 v20, vcc_lo, s3, v20, vcc_lo
	v_lshlrev_b64 v[25:26], 3, v[25:26]
	v_add_co_u32 v21, vcc_lo, s2, v21
	;; [unrolled: 3-line block ×3, first 2 shown]
	v_add_co_ci_u32_e32 v17, vcc_lo, s3, v24, vcc_lo
	v_add_co_u32 v23, vcc_lo, s2, v25
	v_add_co_ci_u32_e32 v24, vcc_lo, s3, v26, vcc_lo
	v_add_co_u32 v25, vcc_lo, s2, v27
	;; [unrolled: 2-line block ×3, first 2 shown]
	v_add_co_ci_u32_e32 v28, vcc_lo, s3, v32, vcc_lo
	s_waitcnt lgkmcnt(3)
	s_clause 0x1
	global_store_b64 v[29:30], v[0:1], off
	global_store_b64 v[29:30], v[2:3], off offset:2048
	s_waitcnt lgkmcnt(2)
	s_clause 0x1
	global_store_b64 v[19:20], v[4:5], off
	global_store_b64 v[21:22], v[6:7], off
	s_waitcnt lgkmcnt(1)
	s_clause 0x1
	global_store_b64 v[16:17], v[8:9], off
	global_store_b64 v[23:24], v[10:11], off
	;; [unrolled: 4-line block ×3, first 2 shown]
	s_nop 0
	s_sendmsg sendmsg(MSG_DEALLOC_VGPRS)
	s_endpgm
	.section	.rodata,"a",@progbits
	.p2align	6, 0x0
	.amdhsa_kernel _Z16warp_load_kernelILj256ELj8ELj32ELN6hipcub17WarpLoadAlgorithmE3EdEvPT3_S3_
		.amdhsa_group_segment_fixed_size 16384
		.amdhsa_private_segment_fixed_size 0
		.amdhsa_kernarg_size 16
		.amdhsa_user_sgpr_count 15
		.amdhsa_user_sgpr_dispatch_ptr 0
		.amdhsa_user_sgpr_queue_ptr 0
		.amdhsa_user_sgpr_kernarg_segment_ptr 1
		.amdhsa_user_sgpr_dispatch_id 0
		.amdhsa_user_sgpr_private_segment_size 0
		.amdhsa_wavefront_size32 1
		.amdhsa_uses_dynamic_stack 0
		.amdhsa_enable_private_segment 0
		.amdhsa_system_sgpr_workgroup_id_x 1
		.amdhsa_system_sgpr_workgroup_id_y 0
		.amdhsa_system_sgpr_workgroup_id_z 0
		.amdhsa_system_sgpr_workgroup_info 0
		.amdhsa_system_vgpr_workitem_id 0
		.amdhsa_next_free_vgpr 34
		.amdhsa_next_free_sgpr 16
		.amdhsa_reserve_vcc 1
		.amdhsa_float_round_mode_32 0
		.amdhsa_float_round_mode_16_64 0
		.amdhsa_float_denorm_mode_32 3
		.amdhsa_float_denorm_mode_16_64 3
		.amdhsa_dx10_clamp 1
		.amdhsa_ieee_mode 1
		.amdhsa_fp16_overflow 0
		.amdhsa_workgroup_processor_mode 1
		.amdhsa_memory_ordered 1
		.amdhsa_forward_progress 0
		.amdhsa_shared_vgpr_count 0
		.amdhsa_exception_fp_ieee_invalid_op 0
		.amdhsa_exception_fp_denorm_src 0
		.amdhsa_exception_fp_ieee_div_zero 0
		.amdhsa_exception_fp_ieee_overflow 0
		.amdhsa_exception_fp_ieee_underflow 0
		.amdhsa_exception_fp_ieee_inexact 0
		.amdhsa_exception_int_div_zero 0
	.end_amdhsa_kernel
	.section	.text._Z16warp_load_kernelILj256ELj8ELj32ELN6hipcub17WarpLoadAlgorithmE3EdEvPT3_S3_,"axG",@progbits,_Z16warp_load_kernelILj256ELj8ELj32ELN6hipcub17WarpLoadAlgorithmE3EdEvPT3_S3_,comdat
.Lfunc_end26:
	.size	_Z16warp_load_kernelILj256ELj8ELj32ELN6hipcub17WarpLoadAlgorithmE3EdEvPT3_S3_, .Lfunc_end26-_Z16warp_load_kernelILj256ELj8ELj32ELN6hipcub17WarpLoadAlgorithmE3EdEvPT3_S3_
                                        ; -- End function
	.section	.AMDGPU.csdata,"",@progbits
; Kernel info:
; codeLenInByte = 576
; NumSgprs: 18
; NumVgprs: 34
; ScratchSize: 0
; MemoryBound: 1
; FloatMode: 240
; IeeeMode: 1
; LDSByteSize: 16384 bytes/workgroup (compile time only)
; SGPRBlocks: 2
; VGPRBlocks: 4
; NumSGPRsForWavesPerEU: 18
; NumVGPRsForWavesPerEU: 34
; Occupancy: 16
; WaveLimiterHint : 1
; COMPUTE_PGM_RSRC2:SCRATCH_EN: 0
; COMPUTE_PGM_RSRC2:USER_SGPR: 15
; COMPUTE_PGM_RSRC2:TRAP_HANDLER: 0
; COMPUTE_PGM_RSRC2:TGID_X_EN: 1
; COMPUTE_PGM_RSRC2:TGID_Y_EN: 0
; COMPUTE_PGM_RSRC2:TGID_Z_EN: 0
; COMPUTE_PGM_RSRC2:TIDIG_COMP_CNT: 0
	.section	.text._Z16warp_load_kernelILj256ELj16ELj32ELN6hipcub17WarpLoadAlgorithmE0EdEvPT3_S3_,"axG",@progbits,_Z16warp_load_kernelILj256ELj16ELj32ELN6hipcub17WarpLoadAlgorithmE0EdEvPT3_S3_,comdat
	.protected	_Z16warp_load_kernelILj256ELj16ELj32ELN6hipcub17WarpLoadAlgorithmE0EdEvPT3_S3_ ; -- Begin function _Z16warp_load_kernelILj256ELj16ELj32ELN6hipcub17WarpLoadAlgorithmE0EdEvPT3_S3_
	.globl	_Z16warp_load_kernelILj256ELj16ELj32ELN6hipcub17WarpLoadAlgorithmE0EdEvPT3_S3_
	.p2align	8
	.type	_Z16warp_load_kernelILj256ELj16ELj32ELN6hipcub17WarpLoadAlgorithmE0EdEvPT3_S3_,@function
_Z16warp_load_kernelILj256ELj16ELj32ELN6hipcub17WarpLoadAlgorithmE0EdEvPT3_S3_: ; @_Z16warp_load_kernelILj256ELj16ELj32ELN6hipcub17WarpLoadAlgorithmE0EdEvPT3_S3_
; %bb.0:
	s_load_b128 s[0:3], s[0:1], 0x0
	v_dual_mov_b32 v34, 0 :: v_dual_lshlrev_b32 v1, 4, v0
	s_lshl_b32 s4, s15, 12
	v_mbcnt_lo_u32_b32 v3, -1, 0
	s_delay_alu instid0(VALU_DEP_2) | instskip(NEXT) | instid1(VALU_DEP_3)
	v_and_or_b32 v33, 0xe00, v1, s4
	v_mov_b32_e32 v36, v34
	s_delay_alu instid0(VALU_DEP_3) | instskip(SKIP_1) | instid1(VALU_DEP_4)
	v_dual_mov_b32 v38, v34 :: v_dual_lshlrev_b32 v3, 7, v3
	v_mov_b32_e32 v40, v34
	v_lshlrev_b64 v[1:2], 3, v[33:34]
	v_or_b32_e32 v33, s4, v0
	v_mov_b32_e32 v42, v34
	v_mov_b32_e32 v44, v34
	v_mov_b32_e32 v46, v34
	v_mov_b32_e32 v48, v34
	v_or_b32_e32 v35, 0x200, v33
	v_lshlrev_b64 v[61:62], 3, v[33:34]
	v_or_b32_e32 v37, 0x300, v33
	s_waitcnt lgkmcnt(0)
	v_add_co_u32 v1, vcc_lo, s0, v1
	v_add_co_ci_u32_e32 v2, vcc_lo, s1, v2, vcc_lo
	v_lshlrev_b64 v[35:36], 3, v[35:36]
	s_delay_alu instid0(VALU_DEP_3) | instskip(NEXT) | instid1(VALU_DEP_3)
	v_add_co_u32 v29, vcc_lo, v1, v3
	v_add_co_ci_u32_e32 v30, vcc_lo, 0, v2, vcc_lo
	v_or_b32_e32 v39, 0x400, v33
	v_lshlrev_b64 v[37:38], 3, v[37:38]
	v_add_co_u32 v61, vcc_lo, s2, v61
	s_clause 0x7
	global_load_b128 v[1:4], v[29:30], off
	global_load_b128 v[5:8], v[29:30], off offset:16
	global_load_b128 v[9:12], v[29:30], off offset:32
	;; [unrolled: 1-line block ×7, first 2 shown]
	v_or_b32_e32 v41, 0x500, v33
	v_add_co_ci_u32_e32 v62, vcc_lo, s3, v62, vcc_lo
	v_lshlrev_b64 v[39:40], 3, v[39:40]
	v_add_co_u32 v35, vcc_lo, s2, v35
	v_or_b32_e32 v43, 0x600, v33
	v_add_co_ci_u32_e32 v36, vcc_lo, s3, v36, vcc_lo
	v_lshlrev_b64 v[41:42], 3, v[41:42]
	v_add_co_u32 v37, vcc_lo, s2, v37
	;; [unrolled: 4-line block ×4, first 2 shown]
	v_mov_b32_e32 v50, v34
	v_or_b32_e32 v49, 0x900, v33
	v_add_co_ci_u32_e32 v42, vcc_lo, s3, v42, vcc_lo
	v_lshlrev_b64 v[47:48], 3, v[47:48]
	v_add_co_u32 v43, vcc_lo, s2, v43
	v_mov_b32_e32 v52, v34
	v_or_b32_e32 v51, 0xa00, v33
	v_add_co_ci_u32_e32 v44, vcc_lo, s3, v44, vcc_lo
	v_lshlrev_b64 v[49:50], 3, v[49:50]
	v_add_co_u32 v45, vcc_lo, s2, v45
	;; [unrolled: 5-line block ×6, first 2 shown]
	v_or_b32_e32 v33, 0xf00, v33
	v_add_co_ci_u32_e32 v54, vcc_lo, s3, v54, vcc_lo
	v_lshlrev_b64 v[59:60], 3, v[59:60]
	v_add_co_u32 v55, vcc_lo, s2, v55
	v_add_co_ci_u32_e32 v56, vcc_lo, s3, v56, vcc_lo
	v_lshlrev_b64 v[33:34], 3, v[33:34]
	v_add_co_u32 v57, vcc_lo, s2, v57
	v_add_co_ci_u32_e32 v58, vcc_lo, s3, v58, vcc_lo
	v_add_co_u32 v59, vcc_lo, s2, v59
	v_add_co_ci_u32_e32 v60, vcc_lo, s3, v60, vcc_lo
	;; [unrolled: 2-line block ×3, first 2 shown]
	s_waitcnt vmcnt(7)
	s_clause 0x1
	global_store_b64 v[61:62], v[1:2], off
	global_store_b64 v[61:62], v[3:4], off offset:2048
	s_waitcnt vmcnt(6)
	s_clause 0x1
	global_store_b64 v[35:36], v[5:6], off
	global_store_b64 v[37:38], v[7:8], off
	s_waitcnt vmcnt(5)
	s_clause 0x1
	global_store_b64 v[39:40], v[9:10], off
	global_store_b64 v[41:42], v[11:12], off
	;; [unrolled: 4-line block ×7, first 2 shown]
	s_nop 0
	s_sendmsg sendmsg(MSG_DEALLOC_VGPRS)
	s_endpgm
	.section	.rodata,"a",@progbits
	.p2align	6, 0x0
	.amdhsa_kernel _Z16warp_load_kernelILj256ELj16ELj32ELN6hipcub17WarpLoadAlgorithmE0EdEvPT3_S3_
		.amdhsa_group_segment_fixed_size 0
		.amdhsa_private_segment_fixed_size 0
		.amdhsa_kernarg_size 16
		.amdhsa_user_sgpr_count 15
		.amdhsa_user_sgpr_dispatch_ptr 0
		.amdhsa_user_sgpr_queue_ptr 0
		.amdhsa_user_sgpr_kernarg_segment_ptr 1
		.amdhsa_user_sgpr_dispatch_id 0
		.amdhsa_user_sgpr_private_segment_size 0
		.amdhsa_wavefront_size32 1
		.amdhsa_uses_dynamic_stack 0
		.amdhsa_enable_private_segment 0
		.amdhsa_system_sgpr_workgroup_id_x 1
		.amdhsa_system_sgpr_workgroup_id_y 0
		.amdhsa_system_sgpr_workgroup_id_z 0
		.amdhsa_system_sgpr_workgroup_info 0
		.amdhsa_system_vgpr_workitem_id 0
		.amdhsa_next_free_vgpr 63
		.amdhsa_next_free_sgpr 16
		.amdhsa_reserve_vcc 1
		.amdhsa_float_round_mode_32 0
		.amdhsa_float_round_mode_16_64 0
		.amdhsa_float_denorm_mode_32 3
		.amdhsa_float_denorm_mode_16_64 3
		.amdhsa_dx10_clamp 1
		.amdhsa_ieee_mode 1
		.amdhsa_fp16_overflow 0
		.amdhsa_workgroup_processor_mode 1
		.amdhsa_memory_ordered 1
		.amdhsa_forward_progress 0
		.amdhsa_shared_vgpr_count 0
		.amdhsa_exception_fp_ieee_invalid_op 0
		.amdhsa_exception_fp_denorm_src 0
		.amdhsa_exception_fp_ieee_div_zero 0
		.amdhsa_exception_fp_ieee_overflow 0
		.amdhsa_exception_fp_ieee_underflow 0
		.amdhsa_exception_fp_ieee_inexact 0
		.amdhsa_exception_int_div_zero 0
	.end_amdhsa_kernel
	.section	.text._Z16warp_load_kernelILj256ELj16ELj32ELN6hipcub17WarpLoadAlgorithmE0EdEvPT3_S3_,"axG",@progbits,_Z16warp_load_kernelILj256ELj16ELj32ELN6hipcub17WarpLoadAlgorithmE0EdEvPT3_S3_,comdat
.Lfunc_end27:
	.size	_Z16warp_load_kernelILj256ELj16ELj32ELN6hipcub17WarpLoadAlgorithmE0EdEvPT3_S3_, .Lfunc_end27-_Z16warp_load_kernelILj256ELj16ELj32ELN6hipcub17WarpLoadAlgorithmE0EdEvPT3_S3_
                                        ; -- End function
	.section	.AMDGPU.csdata,"",@progbits
; Kernel info:
; codeLenInByte = 832
; NumSgprs: 18
; NumVgprs: 63
; ScratchSize: 0
; MemoryBound: 1
; FloatMode: 240
; IeeeMode: 1
; LDSByteSize: 0 bytes/workgroup (compile time only)
; SGPRBlocks: 2
; VGPRBlocks: 7
; NumSGPRsForWavesPerEU: 18
; NumVGPRsForWavesPerEU: 63
; Occupancy: 16
; WaveLimiterHint : 1
; COMPUTE_PGM_RSRC2:SCRATCH_EN: 0
; COMPUTE_PGM_RSRC2:USER_SGPR: 15
; COMPUTE_PGM_RSRC2:TRAP_HANDLER: 0
; COMPUTE_PGM_RSRC2:TGID_X_EN: 1
; COMPUTE_PGM_RSRC2:TGID_Y_EN: 0
; COMPUTE_PGM_RSRC2:TGID_Z_EN: 0
; COMPUTE_PGM_RSRC2:TIDIG_COMP_CNT: 0
	.section	.text._Z16warp_load_kernelILj256ELj16ELj32ELN6hipcub17WarpLoadAlgorithmE1EdEvPT3_S3_,"axG",@progbits,_Z16warp_load_kernelILj256ELj16ELj32ELN6hipcub17WarpLoadAlgorithmE1EdEvPT3_S3_,comdat
	.protected	_Z16warp_load_kernelILj256ELj16ELj32ELN6hipcub17WarpLoadAlgorithmE1EdEvPT3_S3_ ; -- Begin function _Z16warp_load_kernelILj256ELj16ELj32ELN6hipcub17WarpLoadAlgorithmE1EdEvPT3_S3_
	.globl	_Z16warp_load_kernelILj256ELj16ELj32ELN6hipcub17WarpLoadAlgorithmE1EdEvPT3_S3_
	.p2align	8
	.type	_Z16warp_load_kernelILj256ELj16ELj32ELN6hipcub17WarpLoadAlgorithmE1EdEvPT3_S3_,@function
_Z16warp_load_kernelILj256ELj16ELj32ELN6hipcub17WarpLoadAlgorithmE1EdEvPT3_S3_: ; @_Z16warp_load_kernelILj256ELj16ELj32ELN6hipcub17WarpLoadAlgorithmE1EdEvPT3_S3_
; %bb.0:
	s_load_b128 s[0:3], s[0:1], 0x0
	v_dual_mov_b32 v2, 0 :: v_dual_lshlrev_b32 v1, 4, v0
	s_lshl_b32 s4, s15, 12
	v_mbcnt_lo_u32_b32 v5, -1, 0
	s_delay_alu instid0(VALU_DEP_2) | instskip(NEXT) | instid1(VALU_DEP_3)
	v_and_or_b32 v1, 0xe00, v1, s4
	v_mov_b32_e32 v38, v2
	v_mov_b32_e32 v40, v2
	v_mov_b32_e32 v42, v2
	v_mov_b32_e32 v36, v2
	v_lshlrev_b64 v[3:4], 3, v[1:2]
	v_dual_mov_b32 v44, v2 :: v_dual_lshlrev_b32 v1, 3, v5
	v_mov_b32_e32 v46, v2
	v_mov_b32_e32 v48, v2
	;; [unrolled: 1-line block ×6, first 2 shown]
	s_waitcnt lgkmcnt(0)
	v_add_co_u32 v3, vcc_lo, s0, v3
	v_add_co_ci_u32_e32 v4, vcc_lo, s1, v4, vcc_lo
	v_mov_b32_e32 v58, v2
	s_delay_alu instid0(VALU_DEP_3) | instskip(NEXT) | instid1(VALU_DEP_3)
	v_add_co_u32 v3, vcc_lo, v3, v1
	v_add_co_ci_u32_e32 v4, vcc_lo, 0, v4, vcc_lo
	v_or_b32_e32 v1, s4, v0
	v_mov_b32_e32 v60, v2
	s_clause 0xf
	global_load_b64 v[5:6], v[3:4], off
	global_load_b64 v[7:8], v[3:4], off offset:256
	global_load_b64 v[9:10], v[3:4], off offset:512
	;; [unrolled: 1-line block ×15, first 2 shown]
	v_or_b32_e32 v35, 0x200, v1
	v_lshlrev_b64 v[61:62], 3, v[1:2]
	v_or_b32_e32 v37, 0x300, v1
	v_or_b32_e32 v39, 0x400, v1
	;; [unrolled: 1-line block ×3, first 2 shown]
	v_lshlrev_b64 v[35:36], 3, v[35:36]
	v_or_b32_e32 v43, 0x600, v1
	v_lshlrev_b64 v[37:38], 3, v[37:38]
	v_add_co_u32 v61, vcc_lo, s2, v61
	v_add_co_ci_u32_e32 v62, vcc_lo, s3, v62, vcc_lo
	v_lshlrev_b64 v[39:40], 3, v[39:40]
	v_add_co_u32 v35, vcc_lo, s2, v35
	v_add_co_ci_u32_e32 v36, vcc_lo, s3, v36, vcc_lo
	v_lshlrev_b64 v[41:42], 3, v[41:42]
	v_add_co_u32 v37, vcc_lo, s2, v37
	v_or_b32_e32 v45, 0x700, v1
	v_add_co_ci_u32_e32 v38, vcc_lo, s3, v38, vcc_lo
	v_lshlrev_b64 v[43:44], 3, v[43:44]
	v_add_co_u32 v39, vcc_lo, s2, v39
	v_or_b32_e32 v47, 0x800, v1
	;; [unrolled: 4-line block ×9, first 2 shown]
	v_add_co_ci_u32_e32 v54, vcc_lo, s3, v54, vcc_lo
	v_lshlrev_b64 v[59:60], 3, v[59:60]
	v_add_co_u32 v55, vcc_lo, s2, v55
	v_add_co_ci_u32_e32 v56, vcc_lo, s3, v56, vcc_lo
	v_lshlrev_b64 v[0:1], 3, v[1:2]
	v_add_co_u32 v57, vcc_lo, s2, v57
	v_add_co_ci_u32_e32 v58, vcc_lo, s3, v58, vcc_lo
	v_add_co_u32 v59, vcc_lo, s2, v59
	v_add_co_ci_u32_e32 v60, vcc_lo, s3, v60, vcc_lo
	;; [unrolled: 2-line block ×3, first 2 shown]
	s_waitcnt vmcnt(15)
	global_store_b64 v[61:62], v[5:6], off
	s_waitcnt vmcnt(14)
	global_store_b64 v[61:62], v[7:8], off offset:2048
	s_waitcnt vmcnt(13)
	global_store_b64 v[35:36], v[9:10], off
	s_waitcnt vmcnt(12)
	global_store_b64 v[37:38], v[11:12], off
	;; [unrolled: 2-line block ×14, first 2 shown]
	s_nop 0
	s_sendmsg sendmsg(MSG_DEALLOC_VGPRS)
	s_endpgm
	.section	.rodata,"a",@progbits
	.p2align	6, 0x0
	.amdhsa_kernel _Z16warp_load_kernelILj256ELj16ELj32ELN6hipcub17WarpLoadAlgorithmE1EdEvPT3_S3_
		.amdhsa_group_segment_fixed_size 0
		.amdhsa_private_segment_fixed_size 0
		.amdhsa_kernarg_size 16
		.amdhsa_user_sgpr_count 15
		.amdhsa_user_sgpr_dispatch_ptr 0
		.amdhsa_user_sgpr_queue_ptr 0
		.amdhsa_user_sgpr_kernarg_segment_ptr 1
		.amdhsa_user_sgpr_dispatch_id 0
		.amdhsa_user_sgpr_private_segment_size 0
		.amdhsa_wavefront_size32 1
		.amdhsa_uses_dynamic_stack 0
		.amdhsa_enable_private_segment 0
		.amdhsa_system_sgpr_workgroup_id_x 1
		.amdhsa_system_sgpr_workgroup_id_y 0
		.amdhsa_system_sgpr_workgroup_id_z 0
		.amdhsa_system_sgpr_workgroup_info 0
		.amdhsa_system_vgpr_workitem_id 0
		.amdhsa_next_free_vgpr 63
		.amdhsa_next_free_sgpr 16
		.amdhsa_reserve_vcc 1
		.amdhsa_float_round_mode_32 0
		.amdhsa_float_round_mode_16_64 0
		.amdhsa_float_denorm_mode_32 3
		.amdhsa_float_denorm_mode_16_64 3
		.amdhsa_dx10_clamp 1
		.amdhsa_ieee_mode 1
		.amdhsa_fp16_overflow 0
		.amdhsa_workgroup_processor_mode 1
		.amdhsa_memory_ordered 1
		.amdhsa_forward_progress 0
		.amdhsa_shared_vgpr_count 0
		.amdhsa_exception_fp_ieee_invalid_op 0
		.amdhsa_exception_fp_denorm_src 0
		.amdhsa_exception_fp_ieee_div_zero 0
		.amdhsa_exception_fp_ieee_overflow 0
		.amdhsa_exception_fp_ieee_underflow 0
		.amdhsa_exception_fp_ieee_inexact 0
		.amdhsa_exception_int_div_zero 0
	.end_amdhsa_kernel
	.section	.text._Z16warp_load_kernelILj256ELj16ELj32ELN6hipcub17WarpLoadAlgorithmE1EdEvPT3_S3_,"axG",@progbits,_Z16warp_load_kernelILj256ELj16ELj32ELN6hipcub17WarpLoadAlgorithmE1EdEvPT3_S3_,comdat
.Lfunc_end28:
	.size	_Z16warp_load_kernelILj256ELj16ELj32ELN6hipcub17WarpLoadAlgorithmE1EdEvPT3_S3_, .Lfunc_end28-_Z16warp_load_kernelILj256ELj16ELj32ELN6hipcub17WarpLoadAlgorithmE1EdEvPT3_S3_
                                        ; -- End function
	.section	.AMDGPU.csdata,"",@progbits
; Kernel info:
; codeLenInByte = 892
; NumSgprs: 18
; NumVgprs: 63
; ScratchSize: 0
; MemoryBound: 1
; FloatMode: 240
; IeeeMode: 1
; LDSByteSize: 0 bytes/workgroup (compile time only)
; SGPRBlocks: 2
; VGPRBlocks: 7
; NumSGPRsForWavesPerEU: 18
; NumVGPRsForWavesPerEU: 63
; Occupancy: 16
; WaveLimiterHint : 1
; COMPUTE_PGM_RSRC2:SCRATCH_EN: 0
; COMPUTE_PGM_RSRC2:USER_SGPR: 15
; COMPUTE_PGM_RSRC2:TRAP_HANDLER: 0
; COMPUTE_PGM_RSRC2:TGID_X_EN: 1
; COMPUTE_PGM_RSRC2:TGID_Y_EN: 0
; COMPUTE_PGM_RSRC2:TGID_Z_EN: 0
; COMPUTE_PGM_RSRC2:TIDIG_COMP_CNT: 0
	.section	.text._Z16warp_load_kernelILj256ELj16ELj32ELN6hipcub17WarpLoadAlgorithmE2EdEvPT3_S3_,"axG",@progbits,_Z16warp_load_kernelILj256ELj16ELj32ELN6hipcub17WarpLoadAlgorithmE2EdEvPT3_S3_,comdat
	.protected	_Z16warp_load_kernelILj256ELj16ELj32ELN6hipcub17WarpLoadAlgorithmE2EdEvPT3_S3_ ; -- Begin function _Z16warp_load_kernelILj256ELj16ELj32ELN6hipcub17WarpLoadAlgorithmE2EdEvPT3_S3_
	.globl	_Z16warp_load_kernelILj256ELj16ELj32ELN6hipcub17WarpLoadAlgorithmE2EdEvPT3_S3_
	.p2align	8
	.type	_Z16warp_load_kernelILj256ELj16ELj32ELN6hipcub17WarpLoadAlgorithmE2EdEvPT3_S3_,@function
_Z16warp_load_kernelILj256ELj16ELj32ELN6hipcub17WarpLoadAlgorithmE2EdEvPT3_S3_: ; @_Z16warp_load_kernelILj256ELj16ELj32ELN6hipcub17WarpLoadAlgorithmE2EdEvPT3_S3_
; %bb.0:
	s_load_b128 s[0:3], s[0:1], 0x0
	v_dual_mov_b32 v34, 0 :: v_dual_lshlrev_b32 v1, 4, v0
	s_lshl_b32 s4, s15, 12
	v_mbcnt_lo_u32_b32 v3, -1, 0
	s_delay_alu instid0(VALU_DEP_2) | instskip(NEXT) | instid1(VALU_DEP_3)
	v_and_or_b32 v33, 0xe00, v1, s4
	v_mov_b32_e32 v36, v34
	s_delay_alu instid0(VALU_DEP_3) | instskip(SKIP_1) | instid1(VALU_DEP_4)
	v_dual_mov_b32 v38, v34 :: v_dual_lshlrev_b32 v3, 7, v3
	v_mov_b32_e32 v40, v34
	v_lshlrev_b64 v[1:2], 3, v[33:34]
	v_or_b32_e32 v33, s4, v0
	v_mov_b32_e32 v42, v34
	v_mov_b32_e32 v44, v34
	;; [unrolled: 1-line block ×4, first 2 shown]
	v_or_b32_e32 v35, 0x200, v33
	v_lshlrev_b64 v[61:62], 3, v[33:34]
	v_or_b32_e32 v37, 0x300, v33
	s_waitcnt lgkmcnt(0)
	v_add_co_u32 v1, vcc_lo, s0, v1
	v_add_co_ci_u32_e32 v2, vcc_lo, s1, v2, vcc_lo
	v_lshlrev_b64 v[35:36], 3, v[35:36]
	s_delay_alu instid0(VALU_DEP_3) | instskip(NEXT) | instid1(VALU_DEP_3)
	v_add_co_u32 v29, vcc_lo, v1, v3
	v_add_co_ci_u32_e32 v30, vcc_lo, 0, v2, vcc_lo
	v_or_b32_e32 v39, 0x400, v33
	v_lshlrev_b64 v[37:38], 3, v[37:38]
	v_add_co_u32 v61, vcc_lo, s2, v61
	s_clause 0x7
	global_load_b128 v[1:4], v[29:30], off
	global_load_b128 v[5:8], v[29:30], off offset:16
	global_load_b128 v[9:12], v[29:30], off offset:32
	;; [unrolled: 1-line block ×7, first 2 shown]
	v_or_b32_e32 v41, 0x500, v33
	v_add_co_ci_u32_e32 v62, vcc_lo, s3, v62, vcc_lo
	v_lshlrev_b64 v[39:40], 3, v[39:40]
	v_add_co_u32 v35, vcc_lo, s2, v35
	v_or_b32_e32 v43, 0x600, v33
	v_add_co_ci_u32_e32 v36, vcc_lo, s3, v36, vcc_lo
	v_lshlrev_b64 v[41:42], 3, v[41:42]
	v_add_co_u32 v37, vcc_lo, s2, v37
	v_or_b32_e32 v45, 0x700, v33
	v_add_co_ci_u32_e32 v38, vcc_lo, s3, v38, vcc_lo
	v_lshlrev_b64 v[43:44], 3, v[43:44]
	v_add_co_u32 v39, vcc_lo, s2, v39
	v_or_b32_e32 v47, 0x800, v33
	v_add_co_ci_u32_e32 v40, vcc_lo, s3, v40, vcc_lo
	v_lshlrev_b64 v[45:46], 3, v[45:46]
	v_add_co_u32 v41, vcc_lo, s2, v41
	v_mov_b32_e32 v50, v34
	v_or_b32_e32 v49, 0x900, v33
	v_add_co_ci_u32_e32 v42, vcc_lo, s3, v42, vcc_lo
	v_lshlrev_b64 v[47:48], 3, v[47:48]
	v_add_co_u32 v43, vcc_lo, s2, v43
	v_mov_b32_e32 v52, v34
	v_or_b32_e32 v51, 0xa00, v33
	v_add_co_ci_u32_e32 v44, vcc_lo, s3, v44, vcc_lo
	v_lshlrev_b64 v[49:50], 3, v[49:50]
	v_add_co_u32 v45, vcc_lo, s2, v45
	v_mov_b32_e32 v54, v34
	v_or_b32_e32 v53, 0xb00, v33
	v_add_co_ci_u32_e32 v46, vcc_lo, s3, v46, vcc_lo
	v_lshlrev_b64 v[51:52], 3, v[51:52]
	v_add_co_u32 v47, vcc_lo, s2, v47
	v_mov_b32_e32 v56, v34
	v_or_b32_e32 v55, 0xc00, v33
	v_add_co_ci_u32_e32 v48, vcc_lo, s3, v48, vcc_lo
	v_lshlrev_b64 v[53:54], 3, v[53:54]
	v_add_co_u32 v49, vcc_lo, s2, v49
	v_mov_b32_e32 v58, v34
	v_or_b32_e32 v57, 0xd00, v33
	v_add_co_ci_u32_e32 v50, vcc_lo, s3, v50, vcc_lo
	v_lshlrev_b64 v[55:56], 3, v[55:56]
	v_add_co_u32 v51, vcc_lo, s2, v51
	v_mov_b32_e32 v60, v34
	v_or_b32_e32 v59, 0xe00, v33
	v_add_co_ci_u32_e32 v52, vcc_lo, s3, v52, vcc_lo
	v_lshlrev_b64 v[57:58], 3, v[57:58]
	v_add_co_u32 v53, vcc_lo, s2, v53
	v_or_b32_e32 v33, 0xf00, v33
	v_add_co_ci_u32_e32 v54, vcc_lo, s3, v54, vcc_lo
	v_lshlrev_b64 v[59:60], 3, v[59:60]
	v_add_co_u32 v55, vcc_lo, s2, v55
	v_add_co_ci_u32_e32 v56, vcc_lo, s3, v56, vcc_lo
	v_lshlrev_b64 v[33:34], 3, v[33:34]
	v_add_co_u32 v57, vcc_lo, s2, v57
	v_add_co_ci_u32_e32 v58, vcc_lo, s3, v58, vcc_lo
	v_add_co_u32 v59, vcc_lo, s2, v59
	v_add_co_ci_u32_e32 v60, vcc_lo, s3, v60, vcc_lo
	v_add_co_u32 v33, vcc_lo, s2, v33
	v_add_co_ci_u32_e32 v34, vcc_lo, s3, v34, vcc_lo
	s_waitcnt vmcnt(7)
	s_clause 0x1
	global_store_b64 v[61:62], v[1:2], off
	global_store_b64 v[61:62], v[3:4], off offset:2048
	s_waitcnt vmcnt(6)
	s_clause 0x1
	global_store_b64 v[35:36], v[5:6], off
	global_store_b64 v[37:38], v[7:8], off
	s_waitcnt vmcnt(5)
	s_clause 0x1
	global_store_b64 v[39:40], v[9:10], off
	global_store_b64 v[41:42], v[11:12], off
	;; [unrolled: 4-line block ×7, first 2 shown]
	s_nop 0
	s_sendmsg sendmsg(MSG_DEALLOC_VGPRS)
	s_endpgm
	.section	.rodata,"a",@progbits
	.p2align	6, 0x0
	.amdhsa_kernel _Z16warp_load_kernelILj256ELj16ELj32ELN6hipcub17WarpLoadAlgorithmE2EdEvPT3_S3_
		.amdhsa_group_segment_fixed_size 0
		.amdhsa_private_segment_fixed_size 0
		.amdhsa_kernarg_size 16
		.amdhsa_user_sgpr_count 15
		.amdhsa_user_sgpr_dispatch_ptr 0
		.amdhsa_user_sgpr_queue_ptr 0
		.amdhsa_user_sgpr_kernarg_segment_ptr 1
		.amdhsa_user_sgpr_dispatch_id 0
		.amdhsa_user_sgpr_private_segment_size 0
		.amdhsa_wavefront_size32 1
		.amdhsa_uses_dynamic_stack 0
		.amdhsa_enable_private_segment 0
		.amdhsa_system_sgpr_workgroup_id_x 1
		.amdhsa_system_sgpr_workgroup_id_y 0
		.amdhsa_system_sgpr_workgroup_id_z 0
		.amdhsa_system_sgpr_workgroup_info 0
		.amdhsa_system_vgpr_workitem_id 0
		.amdhsa_next_free_vgpr 63
		.amdhsa_next_free_sgpr 16
		.amdhsa_reserve_vcc 1
		.amdhsa_float_round_mode_32 0
		.amdhsa_float_round_mode_16_64 0
		.amdhsa_float_denorm_mode_32 3
		.amdhsa_float_denorm_mode_16_64 3
		.amdhsa_dx10_clamp 1
		.amdhsa_ieee_mode 1
		.amdhsa_fp16_overflow 0
		.amdhsa_workgroup_processor_mode 1
		.amdhsa_memory_ordered 1
		.amdhsa_forward_progress 0
		.amdhsa_shared_vgpr_count 0
		.amdhsa_exception_fp_ieee_invalid_op 0
		.amdhsa_exception_fp_denorm_src 0
		.amdhsa_exception_fp_ieee_div_zero 0
		.amdhsa_exception_fp_ieee_overflow 0
		.amdhsa_exception_fp_ieee_underflow 0
		.amdhsa_exception_fp_ieee_inexact 0
		.amdhsa_exception_int_div_zero 0
	.end_amdhsa_kernel
	.section	.text._Z16warp_load_kernelILj256ELj16ELj32ELN6hipcub17WarpLoadAlgorithmE2EdEvPT3_S3_,"axG",@progbits,_Z16warp_load_kernelILj256ELj16ELj32ELN6hipcub17WarpLoadAlgorithmE2EdEvPT3_S3_,comdat
.Lfunc_end29:
	.size	_Z16warp_load_kernelILj256ELj16ELj32ELN6hipcub17WarpLoadAlgorithmE2EdEvPT3_S3_, .Lfunc_end29-_Z16warp_load_kernelILj256ELj16ELj32ELN6hipcub17WarpLoadAlgorithmE2EdEvPT3_S3_
                                        ; -- End function
	.section	.AMDGPU.csdata,"",@progbits
; Kernel info:
; codeLenInByte = 832
; NumSgprs: 18
; NumVgprs: 63
; ScratchSize: 0
; MemoryBound: 1
; FloatMode: 240
; IeeeMode: 1
; LDSByteSize: 0 bytes/workgroup (compile time only)
; SGPRBlocks: 2
; VGPRBlocks: 7
; NumSGPRsForWavesPerEU: 18
; NumVGPRsForWavesPerEU: 63
; Occupancy: 16
; WaveLimiterHint : 1
; COMPUTE_PGM_RSRC2:SCRATCH_EN: 0
; COMPUTE_PGM_RSRC2:USER_SGPR: 15
; COMPUTE_PGM_RSRC2:TRAP_HANDLER: 0
; COMPUTE_PGM_RSRC2:TGID_X_EN: 1
; COMPUTE_PGM_RSRC2:TGID_Y_EN: 0
; COMPUTE_PGM_RSRC2:TGID_Z_EN: 0
; COMPUTE_PGM_RSRC2:TIDIG_COMP_CNT: 0
	.section	.text._Z16warp_load_kernelILj256ELj16ELj32ELN6hipcub17WarpLoadAlgorithmE3EdEvPT3_S3_,"axG",@progbits,_Z16warp_load_kernelILj256ELj16ELj32ELN6hipcub17WarpLoadAlgorithmE3EdEvPT3_S3_,comdat
	.protected	_Z16warp_load_kernelILj256ELj16ELj32ELN6hipcub17WarpLoadAlgorithmE3EdEvPT3_S3_ ; -- Begin function _Z16warp_load_kernelILj256ELj16ELj32ELN6hipcub17WarpLoadAlgorithmE3EdEvPT3_S3_
	.globl	_Z16warp_load_kernelILj256ELj16ELj32ELN6hipcub17WarpLoadAlgorithmE3EdEvPT3_S3_
	.p2align	8
	.type	_Z16warp_load_kernelILj256ELj16ELj32ELN6hipcub17WarpLoadAlgorithmE3EdEvPT3_S3_,@function
_Z16warp_load_kernelILj256ELj16ELj32ELN6hipcub17WarpLoadAlgorithmE3EdEvPT3_S3_: ; @_Z16warp_load_kernelILj256ELj16ELj32ELN6hipcub17WarpLoadAlgorithmE3EdEvPT3_S3_
; %bb.0:
	s_load_b128 s[0:3], s[0:1], 0x0
	v_lshrrev_b32_e32 v35, 5, v0
	s_lshl_b32 s4, s15, 12
	v_mbcnt_lo_u32_b32 v37, -1, 0
	v_mov_b32_e32 v2, 0
	s_delay_alu instid0(VALU_DEP_3) | instskip(SKIP_1) | instid1(VALU_DEP_2)
	v_lshl_or_b32 v1, v35, 9, s4
	v_lshlrev_b32_e32 v35, 12, v35
	v_lshlrev_b64 v[3:4], 3, v[1:2]
	v_dual_mov_b32 v36, v2 :: v_dual_lshlrev_b32 v1, 3, v37
	v_mov_b32_e32 v38, v2
	s_delay_alu instid0(VALU_DEP_4) | instskip(SKIP_1) | instid1(VALU_DEP_4)
	v_lshl_or_b32 v66, v37, 7, v35
	v_mov_b32_e32 v40, v2
	v_or_b32_e32 v65, v35, v1
	v_mov_b32_e32 v42, v2
	v_mov_b32_e32 v44, v2
	s_waitcnt lgkmcnt(0)
	v_add_co_u32 v3, vcc_lo, s0, v3
	v_add_co_ci_u32_e32 v4, vcc_lo, s1, v4, vcc_lo
	v_mov_b32_e32 v46, v2
	s_delay_alu instid0(VALU_DEP_3) | instskip(NEXT) | instid1(VALU_DEP_3)
	v_add_co_u32 v3, vcc_lo, v3, v1
	v_add_co_ci_u32_e32 v4, vcc_lo, 0, v4, vcc_lo
	v_or_b32_e32 v1, s4, v0
	v_mov_b32_e32 v48, v2
	v_mov_b32_e32 v50, v2
	s_clause 0xf
	global_load_b64 v[5:6], v[3:4], off
	global_load_b64 v[7:8], v[3:4], off offset:256
	global_load_b64 v[9:10], v[3:4], off offset:512
	;; [unrolled: 1-line block ×15, first 2 shown]
	v_mov_b32_e32 v52, v2
	v_or_b32_e32 v35, 0x200, v1
	v_lshlrev_b64 v[61:62], 3, v[1:2]
	v_or_b32_e32 v37, 0x300, v1
	v_or_b32_e32 v39, 0x400, v1
	;; [unrolled: 1-line block ×3, first 2 shown]
	v_lshlrev_b64 v[35:36], 3, v[35:36]
	v_or_b32_e32 v43, 0x600, v1
	v_lshlrev_b64 v[37:38], 3, v[37:38]
	v_add_co_u32 v61, vcc_lo, s2, v61
	v_add_co_ci_u32_e32 v62, vcc_lo, s3, v62, vcc_lo
	v_lshlrev_b64 v[39:40], 3, v[39:40]
	v_add_co_u32 v35, vcc_lo, s2, v35
	v_add_co_ci_u32_e32 v36, vcc_lo, s3, v36, vcc_lo
	v_lshlrev_b64 v[41:42], 3, v[41:42]
	v_add_co_u32 v37, vcc_lo, s2, v37
	v_or_b32_e32 v45, 0x700, v1
	v_add_co_ci_u32_e32 v38, vcc_lo, s3, v38, vcc_lo
	v_lshlrev_b64 v[43:44], 3, v[43:44]
	v_add_co_u32 v39, vcc_lo, s2, v39
	v_or_b32_e32 v47, 0x800, v1
	;; [unrolled: 4-line block ×4, first 2 shown]
	v_add_co_ci_u32_e32 v44, vcc_lo, s3, v44, vcc_lo
	v_lshlrev_b64 v[49:50], 3, v[49:50]
	v_add_co_u32 v45, vcc_lo, s2, v45
	v_mov_b32_e32 v54, v2
	v_or_b32_e32 v53, 0xb00, v1
	v_or_b32_e32 v55, 0xc00, v1
	;; [unrolled: 1-line block ×5, first 2 shown]
	v_add_co_ci_u32_e32 v46, vcc_lo, s3, v46, vcc_lo
	v_lshlrev_b64 v[51:52], 3, v[51:52]
	v_add_co_u32 v47, vcc_lo, s2, v47
	v_mov_b32_e32 v56, v2
	v_add_nc_u32_e32 v0, 0x800, v65
	v_add_co_ci_u32_e32 v48, vcc_lo, s3, v48, vcc_lo
	v_mov_b32_e32 v58, v2
	v_mov_b32_e32 v60, v2
	v_lshlrev_b64 v[53:54], 3, v[53:54]
	v_lshlrev_b64 v[63:64], 3, v[1:2]
	v_add_co_u32 v49, vcc_lo, s2, v49
	v_add_co_ci_u32_e32 v50, vcc_lo, s3, v50, vcc_lo
	v_lshlrev_b64 v[55:56], 3, v[55:56]
	v_add_co_u32 v51, vcc_lo, s2, v51
	v_add_co_ci_u32_e32 v52, vcc_lo, s3, v52, vcc_lo
	;; [unrolled: 3-line block ×4, first 2 shown]
	s_waitcnt vmcnt(14)
	ds_store_2addr_b64 v65, v[5:6], v[7:8] offset1:32
	s_waitcnt vmcnt(12)
	ds_store_2addr_b64 v65, v[9:10], v[11:12] offset0:64 offset1:96
	s_waitcnt vmcnt(10)
	ds_store_2addr_b64 v65, v[13:14], v[15:16] offset0:128 offset1:160
	;; [unrolled: 2-line block ×3, first 2 shown]
	s_waitcnt vmcnt(6)
	ds_store_2addr_b64 v0, v[21:22], v[23:24] offset1:32
	s_waitcnt vmcnt(4)
	ds_store_2addr_b64 v0, v[25:26], v[27:28] offset0:64 offset1:96
	s_waitcnt vmcnt(2)
	ds_store_2addr_b64 v0, v[29:30], v[31:32] offset0:128 offset1:160
	;; [unrolled: 2-line block ×3, first 2 shown]
	; wave barrier
	ds_load_b128 v[0:3], v66
	ds_load_b128 v[4:7], v66 offset:16
	ds_load_b128 v[8:11], v66 offset:32
	;; [unrolled: 1-line block ×7, first 2 shown]
	v_add_co_u32 v32, vcc_lo, s2, v57
	v_add_co_ci_u32_e32 v33, vcc_lo, s3, v58, vcc_lo
	v_add_co_u32 v57, vcc_lo, s2, v59
	v_add_co_ci_u32_e32 v58, vcc_lo, s3, v60, vcc_lo
	;; [unrolled: 2-line block ×3, first 2 shown]
	s_waitcnt lgkmcnt(7)
	s_clause 0x1
	global_store_b64 v[61:62], v[0:1], off
	global_store_b64 v[61:62], v[2:3], off offset:2048
	s_waitcnt lgkmcnt(6)
	s_clause 0x1
	global_store_b64 v[35:36], v[4:5], off
	global_store_b64 v[37:38], v[6:7], off
	s_waitcnt lgkmcnt(5)
	s_clause 0x1
	global_store_b64 v[39:40], v[8:9], off
	global_store_b64 v[41:42], v[10:11], off
	;; [unrolled: 4-line block ×7, first 2 shown]
	s_nop 0
	s_sendmsg sendmsg(MSG_DEALLOC_VGPRS)
	s_endpgm
	.section	.rodata,"a",@progbits
	.p2align	6, 0x0
	.amdhsa_kernel _Z16warp_load_kernelILj256ELj16ELj32ELN6hipcub17WarpLoadAlgorithmE3EdEvPT3_S3_
		.amdhsa_group_segment_fixed_size 32768
		.amdhsa_private_segment_fixed_size 0
		.amdhsa_kernarg_size 16
		.amdhsa_user_sgpr_count 15
		.amdhsa_user_sgpr_dispatch_ptr 0
		.amdhsa_user_sgpr_queue_ptr 0
		.amdhsa_user_sgpr_kernarg_segment_ptr 1
		.amdhsa_user_sgpr_dispatch_id 0
		.amdhsa_user_sgpr_private_segment_size 0
		.amdhsa_wavefront_size32 1
		.amdhsa_uses_dynamic_stack 0
		.amdhsa_enable_private_segment 0
		.amdhsa_system_sgpr_workgroup_id_x 1
		.amdhsa_system_sgpr_workgroup_id_y 0
		.amdhsa_system_sgpr_workgroup_id_z 0
		.amdhsa_system_sgpr_workgroup_info 0
		.amdhsa_system_vgpr_workitem_id 0
		.amdhsa_next_free_vgpr 67
		.amdhsa_next_free_sgpr 16
		.amdhsa_reserve_vcc 1
		.amdhsa_float_round_mode_32 0
		.amdhsa_float_round_mode_16_64 0
		.amdhsa_float_denorm_mode_32 3
		.amdhsa_float_denorm_mode_16_64 3
		.amdhsa_dx10_clamp 1
		.amdhsa_ieee_mode 1
		.amdhsa_fp16_overflow 0
		.amdhsa_workgroup_processor_mode 1
		.amdhsa_memory_ordered 1
		.amdhsa_forward_progress 0
		.amdhsa_shared_vgpr_count 0
		.amdhsa_exception_fp_ieee_invalid_op 0
		.amdhsa_exception_fp_denorm_src 0
		.amdhsa_exception_fp_ieee_div_zero 0
		.amdhsa_exception_fp_ieee_overflow 0
		.amdhsa_exception_fp_ieee_underflow 0
		.amdhsa_exception_fp_ieee_inexact 0
		.amdhsa_exception_int_div_zero 0
	.end_amdhsa_kernel
	.section	.text._Z16warp_load_kernelILj256ELj16ELj32ELN6hipcub17WarpLoadAlgorithmE3EdEvPT3_S3_,"axG",@progbits,_Z16warp_load_kernelILj256ELj16ELj32ELN6hipcub17WarpLoadAlgorithmE3EdEvPT3_S3_,comdat
.Lfunc_end30:
	.size	_Z16warp_load_kernelILj256ELj16ELj32ELN6hipcub17WarpLoadAlgorithmE3EdEvPT3_S3_, .Lfunc_end30-_Z16warp_load_kernelILj256ELj16ELj32ELN6hipcub17WarpLoadAlgorithmE3EdEvPT3_S3_
                                        ; -- End function
	.section	.AMDGPU.csdata,"",@progbits
; Kernel info:
; codeLenInByte = 1076
; NumSgprs: 18
; NumVgprs: 67
; ScratchSize: 0
; MemoryBound: 1
; FloatMode: 240
; IeeeMode: 1
; LDSByteSize: 32768 bytes/workgroup (compile time only)
; SGPRBlocks: 2
; VGPRBlocks: 8
; NumSGPRsForWavesPerEU: 18
; NumVGPRsForWavesPerEU: 67
; Occupancy: 8
; WaveLimiterHint : 1
; COMPUTE_PGM_RSRC2:SCRATCH_EN: 0
; COMPUTE_PGM_RSRC2:USER_SGPR: 15
; COMPUTE_PGM_RSRC2:TRAP_HANDLER: 0
; COMPUTE_PGM_RSRC2:TGID_X_EN: 1
; COMPUTE_PGM_RSRC2:TGID_Y_EN: 0
; COMPUTE_PGM_RSRC2:TGID_Z_EN: 0
; COMPUTE_PGM_RSRC2:TIDIG_COMP_CNT: 0
	.section	.text._Z16warp_load_kernelILj256ELj32ELj32ELN6hipcub17WarpLoadAlgorithmE0EdEvPT3_S3_,"axG",@progbits,_Z16warp_load_kernelILj256ELj32ELj32ELN6hipcub17WarpLoadAlgorithmE0EdEvPT3_S3_,comdat
	.protected	_Z16warp_load_kernelILj256ELj32ELj32ELN6hipcub17WarpLoadAlgorithmE0EdEvPT3_S3_ ; -- Begin function _Z16warp_load_kernelILj256ELj32ELj32ELN6hipcub17WarpLoadAlgorithmE0EdEvPT3_S3_
	.globl	_Z16warp_load_kernelILj256ELj32ELj32ELN6hipcub17WarpLoadAlgorithmE0EdEvPT3_S3_
	.p2align	8
	.type	_Z16warp_load_kernelILj256ELj32ELj32ELN6hipcub17WarpLoadAlgorithmE0EdEvPT3_S3_,@function
_Z16warp_load_kernelILj256ELj32ELj32ELN6hipcub17WarpLoadAlgorithmE0EdEvPT3_S3_: ; @_Z16warp_load_kernelILj256ELj32ELj32ELN6hipcub17WarpLoadAlgorithmE0EdEvPT3_S3_
; %bb.0:
	s_load_b128 s[0:3], s[0:1], 0x0
	v_dual_mov_b32 v14, 0 :: v_dual_lshlrev_b32 v1, 5, v0
	s_lshl_b32 s4, s15, 13
	v_mbcnt_lo_u32_b32 v3, -1, 0
	s_delay_alu instid0(VALU_DEP_2) | instskip(NEXT) | instid1(VALU_DEP_3)
	v_and_or_b32 v13, 0x1c00, v1, s4
	v_mov_b32_e32 v68, v14
	s_delay_alu instid0(VALU_DEP_3) | instskip(SKIP_1) | instid1(VALU_DEP_4)
	v_dual_mov_b32 v70, v14 :: v_dual_lshlrev_b32 v3, 8, v3
	v_mov_b32_e32 v71, v14
	v_lshlrev_b64 v[1:2], 3, v[13:14]
	v_or_b32_e32 v13, s4, v0
	v_mov_b32_e32 v73, v14
	v_mov_b32_e32 v75, v14
	;; [unrolled: 1-line block ×4, first 2 shown]
	v_or_b32_e32 v67, 0x200, v13
	v_lshlrev_b64 v[83:84], 3, v[13:14]
	v_or_b32_e32 v69, 0x300, v13
	s_waitcnt lgkmcnt(0)
	v_add_co_u32 v1, vcc_lo, s0, v1
	v_add_co_ci_u32_e32 v2, vcc_lo, s1, v2, vcc_lo
	v_lshlrev_b64 v[67:68], 3, v[67:68]
	s_delay_alu instid0(VALU_DEP_3) | instskip(NEXT) | instid1(VALU_DEP_3)
	v_add_co_u32 v63, vcc_lo, v1, v3
	v_add_co_ci_u32_e32 v64, vcc_lo, 0, v2, vcc_lo
	v_add_co_u32 v83, vcc_lo, s2, v83
	v_lshlrev_b64 v[69:70], 3, v[69:70]
	s_clause 0xf
	global_load_b128 v[15:18], v[63:64], off
	global_load_b128 v[19:22], v[63:64], off offset:16
	global_load_b128 v[23:26], v[63:64], off offset:32
	;; [unrolled: 1-line block ×15, first 2 shown]
	v_add_co_ci_u32_e32 v84, vcc_lo, s3, v84, vcc_lo
	v_add_co_u32 v67, vcc_lo, s2, v67
	v_add_co_ci_u32_e32 v68, vcc_lo, s3, v68, vcc_lo
	v_or_b32_e32 v72, 0x500, v13
	v_or_b32_e32 v74, 0x600, v13
	;; [unrolled: 1-line block ×3, first 2 shown]
	v_mov_b32_e32 v80, v14
	v_or_b32_e32 v79, 0x900, v13
	v_lshlrev_b64 v[72:73], 3, v[72:73]
	v_lshlrev_b64 v[74:75], 3, v[74:75]
	;; [unrolled: 1-line block ×3, first 2 shown]
	v_mov_b32_e32 v82, v14
	v_or_b32_e32 v81, 0xa00, v13
	v_mov_b32_e32 v85, v14
	v_mov_b32_e32 v87, v14
	v_or_b32_e32 v86, 0xc00, v13
	v_mov_b32_e32 v89, v14
	v_or_b32_e32 v88, 0xd00, v13
	;; [unrolled: 2-line block ×3, first 2 shown]
	v_lshlrev_b64 v[86:87], 3, v[86:87]
	s_waitcnt vmcnt(15)
	s_clause 0x1
	global_store_b64 v[83:84], v[15:16], off
	global_store_b64 v[83:84], v[17:18], off offset:2048
	v_add_co_u32 v83, vcc_lo, s2, v69
	v_add_co_ci_u32_e32 v84, vcc_lo, s3, v70, vcc_lo
	v_or_b32_e32 v70, 0x400, v13
	s_waitcnt vmcnt(14)
	global_store_b64 v[67:68], v[19:20], off
	v_mov_b32_e32 v16, v14
	global_store_b64 v[83:84], v[21:22], off
	v_or_b32_e32 v84, 0xb00, v13
	v_lshlrev_b64 v[67:68], 3, v[70:71]
	v_mov_b32_e32 v83, v14
	v_or_b32_e32 v15, 0xe00, v13
	v_lshlrev_b64 v[88:89], 3, v[88:89]
	v_lshlrev_b64 v[84:85], 3, v[84:85]
	v_mov_b32_e32 v18, v14
	v_add_co_u32 v67, vcc_lo, s2, v67
	v_add_co_ci_u32_e32 v68, vcc_lo, s3, v68, vcc_lo
	v_add_co_u32 v72, vcc_lo, s2, v72
	v_add_co_ci_u32_e32 v73, vcc_lo, s3, v73, vcc_lo
	;; [unrolled: 2-line block ×3, first 2 shown]
	s_waitcnt vmcnt(13)
	s_clause 0x1
	global_store_b64 v[67:68], v[23:24], off
	global_store_b64 v[72:73], v[25:26], off
	v_add_co_u32 v67, vcc_lo, s2, v76
	v_add_co_ci_u32_e32 v68, vcc_lo, s3, v77, vcc_lo
	v_or_b32_e32 v77, 0x800, v13
	s_waitcnt vmcnt(12)
	global_store_b64 v[74:75], v[27:28], off
	v_or_b32_e32 v17, 0xf00, v13
	global_store_b64 v[67:68], v[29:30], off
	v_lshlrev_b64 v[67:68], 3, v[79:80]
	v_lshlrev_b64 v[74:75], 3, v[77:78]
	;; [unrolled: 1-line block ×3, first 2 shown]
	v_or_b32_e32 v82, 0x1400, v13
	v_lshlrev_b64 v[15:16], 3, v[15:16]
	v_mov_b32_e32 v69, v14
	v_lshlrev_b64 v[17:18], 3, v[17:18]
	v_add_co_u32 v74, vcc_lo, s2, v74
	v_add_co_ci_u32_e32 v75, vcc_lo, s3, v75, vcc_lo
	v_add_co_u32 v67, vcc_lo, s2, v67
	v_add_co_ci_u32_e32 v68, vcc_lo, s3, v68, vcc_lo
	;; [unrolled: 2-line block ×3, first 2 shown]
	v_lshlrev_b64 v[81:82], 3, v[82:83]
	v_add_co_u32 v83, vcc_lo, s2, v84
	v_add_co_ci_u32_e32 v84, vcc_lo, s3, v85, vcc_lo
	v_add_co_u32 v85, vcc_lo, s2, v86
	s_waitcnt vmcnt(11)
	s_clause 0x1
	global_store_b64 v[74:75], v[31:32], off
	global_store_b64 v[67:68], v[33:34], off
	v_or_b32_e32 v68, 0x1000, v13
	v_add_co_ci_u32_e32 v86, vcc_lo, s3, v87, vcc_lo
	v_add_co_u32 v87, vcc_lo, s2, v88
	v_mov_b32_e32 v20, v14
	v_or_b32_e32 v19, 0x1100, v13
	v_add_co_ci_u32_e32 v88, vcc_lo, s3, v89, vcc_lo
	v_lshlrev_b64 v[67:68], 3, v[68:69]
	v_add_co_u32 v15, vcc_lo, s2, v15
	v_mov_b32_e32 v22, v14
	v_or_b32_e32 v21, 0x1200, v13
	v_add_co_ci_u32_e32 v16, vcc_lo, s3, v16, vcc_lo
	v_lshlrev_b64 v[19:20], 3, v[19:20]
	v_add_co_u32 v17, vcc_lo, s2, v17
	v_or_b32_e32 v70, 0x1300, v13
	v_add_co_ci_u32_e32 v18, vcc_lo, s3, v18, vcc_lo
	v_lshlrev_b64 v[21:22], 3, v[21:22]
	v_add_co_u32 v67, vcc_lo, s2, v67
	v_add_co_ci_u32_e32 v68, vcc_lo, s3, v68, vcc_lo
	v_lshlrev_b64 v[69:70], 3, v[70:71]
	v_add_co_u32 v19, vcc_lo, s2, v19
	v_mov_b32_e32 v24, v14
	v_or_b32_e32 v23, 0x1500, v13
	v_add_co_ci_u32_e32 v20, vcc_lo, s3, v20, vcc_lo
	v_add_co_u32 v21, vcc_lo, s2, v21
	v_mov_b32_e32 v26, v14
	v_or_b32_e32 v25, 0x1600, v13
	v_add_co_ci_u32_e32 v22, vcc_lo, s3, v22, vcc_lo
	v_lshlrev_b64 v[23:24], 3, v[23:24]
	v_add_co_u32 v69, vcc_lo, s2, v69
	v_mov_b32_e32 v73, v14
	v_or_b32_e32 v72, 0x1700, v13
	v_add_co_ci_u32_e32 v70, vcc_lo, s3, v70, vcc_lo
	v_lshlrev_b64 v[25:26], 3, v[25:26]
	;; [unrolled: 5-line block ×5, first 2 shown]
	v_add_co_u32 v71, vcc_lo, s2, v71
	v_or_b32_e32 v77, 0x1b00, v13
	v_add_co_ci_u32_e32 v72, vcc_lo, s3, v72, vcc_lo
	v_lshlrev_b64 v[29:30], 3, v[29:30]
	v_add_co_u32 v73, vcc_lo, s2, v73
	v_add_co_ci_u32_e32 v74, vcc_lo, s3, v74, vcc_lo
	v_lshlrev_b64 v[75:76], 3, v[77:78]
	v_add_co_u32 v27, vcc_lo, s2, v27
	v_mov_b32_e32 v32, v14
	v_or_b32_e32 v31, 0x1d00, v13
	v_add_co_ci_u32_e32 v28, vcc_lo, s3, v28, vcc_lo
	v_lshlrev_b64 v[77:78], 3, v[90:91]
	v_add_co_u32 v29, vcc_lo, s2, v29
	v_mov_b32_e32 v34, v14
	v_or_b32_e32 v33, 0x1e00, v13
	v_add_co_ci_u32_e32 v30, vcc_lo, s3, v30, vcc_lo
	v_lshlrev_b64 v[31:32], 3, v[31:32]
	v_add_co_u32 v75, vcc_lo, s2, v75
	v_or_b32_e32 v13, 0x1f00, v13
	v_add_co_ci_u32_e32 v76, vcc_lo, s3, v76, vcc_lo
	v_lshlrev_b64 v[33:34], 3, v[33:34]
	v_add_co_u32 v77, vcc_lo, s2, v77
	v_add_co_ci_u32_e32 v78, vcc_lo, s3, v78, vcc_lo
	v_lshlrev_b64 v[13:14], 3, v[13:14]
	v_add_co_u32 v31, vcc_lo, s2, v31
	v_add_co_ci_u32_e32 v32, vcc_lo, s3, v32, vcc_lo
	v_add_co_u32 v33, vcc_lo, s2, v33
	v_add_co_ci_u32_e32 v34, vcc_lo, s3, v34, vcc_lo
	;; [unrolled: 2-line block ×3, first 2 shown]
	s_waitcnt vmcnt(10)
	s_clause 0x1
	global_store_b64 v[79:80], v[9:10], off
	global_store_b64 v[83:84], v[11:12], off
	s_waitcnt vmcnt(9)
	s_clause 0x1
	global_store_b64 v[85:86], v[5:6], off
	global_store_b64 v[87:88], v[7:8], off
	s_waitcnt vmcnt(8)
	s_clause 0x1
	global_store_b64 v[15:16], v[1:2], off
	global_store_b64 v[17:18], v[3:4], off
	s_waitcnt vmcnt(7)
	s_clause 0x1
	global_store_b64 v[67:68], v[35:36], off
	global_store_b64 v[19:20], v[37:38], off
	s_waitcnt vmcnt(6)
	s_clause 0x1
	global_store_b64 v[21:22], v[39:40], off
	global_store_b64 v[69:70], v[41:42], off
	s_waitcnt vmcnt(5)
	s_clause 0x1
	global_store_b64 v[81:82], v[43:44], off
	global_store_b64 v[23:24], v[45:46], off
	s_waitcnt vmcnt(4)
	s_clause 0x1
	global_store_b64 v[25:26], v[47:48], off
	global_store_b64 v[71:72], v[49:50], off
	s_waitcnt vmcnt(3)
	s_clause 0x1
	global_store_b64 v[73:74], v[51:52], off
	global_store_b64 v[27:28], v[53:54], off
	s_waitcnt vmcnt(2)
	s_clause 0x1
	global_store_b64 v[29:30], v[55:56], off
	global_store_b64 v[75:76], v[57:58], off
	s_waitcnt vmcnt(1)
	s_clause 0x1
	global_store_b64 v[77:78], v[59:60], off
	global_store_b64 v[31:32], v[61:62], off
	s_waitcnt vmcnt(0)
	s_clause 0x1
	global_store_b64 v[33:34], v[63:64], off
	global_store_b64 v[13:14], v[65:66], off
	s_nop 0
	s_sendmsg sendmsg(MSG_DEALLOC_VGPRS)
	s_endpgm
	.section	.rodata,"a",@progbits
	.p2align	6, 0x0
	.amdhsa_kernel _Z16warp_load_kernelILj256ELj32ELj32ELN6hipcub17WarpLoadAlgorithmE0EdEvPT3_S3_
		.amdhsa_group_segment_fixed_size 0
		.amdhsa_private_segment_fixed_size 0
		.amdhsa_kernarg_size 16
		.amdhsa_user_sgpr_count 15
		.amdhsa_user_sgpr_dispatch_ptr 0
		.amdhsa_user_sgpr_queue_ptr 0
		.amdhsa_user_sgpr_kernarg_segment_ptr 1
		.amdhsa_user_sgpr_dispatch_id 0
		.amdhsa_user_sgpr_private_segment_size 0
		.amdhsa_wavefront_size32 1
		.amdhsa_uses_dynamic_stack 0
		.amdhsa_enable_private_segment 0
		.amdhsa_system_sgpr_workgroup_id_x 1
		.amdhsa_system_sgpr_workgroup_id_y 0
		.amdhsa_system_sgpr_workgroup_id_z 0
		.amdhsa_system_sgpr_workgroup_info 0
		.amdhsa_system_vgpr_workitem_id 0
		.amdhsa_next_free_vgpr 92
		.amdhsa_next_free_sgpr 16
		.amdhsa_reserve_vcc 1
		.amdhsa_float_round_mode_32 0
		.amdhsa_float_round_mode_16_64 0
		.amdhsa_float_denorm_mode_32 3
		.amdhsa_float_denorm_mode_16_64 3
		.amdhsa_dx10_clamp 1
		.amdhsa_ieee_mode 1
		.amdhsa_fp16_overflow 0
		.amdhsa_workgroup_processor_mode 1
		.amdhsa_memory_ordered 1
		.amdhsa_forward_progress 0
		.amdhsa_shared_vgpr_count 0
		.amdhsa_exception_fp_ieee_invalid_op 0
		.amdhsa_exception_fp_denorm_src 0
		.amdhsa_exception_fp_ieee_div_zero 0
		.amdhsa_exception_fp_ieee_overflow 0
		.amdhsa_exception_fp_ieee_underflow 0
		.amdhsa_exception_fp_ieee_inexact 0
		.amdhsa_exception_int_div_zero 0
	.end_amdhsa_kernel
	.section	.text._Z16warp_load_kernelILj256ELj32ELj32ELN6hipcub17WarpLoadAlgorithmE0EdEvPT3_S3_,"axG",@progbits,_Z16warp_load_kernelILj256ELj32ELj32ELN6hipcub17WarpLoadAlgorithmE0EdEvPT3_S3_,comdat
.Lfunc_end31:
	.size	_Z16warp_load_kernelILj256ELj32ELj32ELN6hipcub17WarpLoadAlgorithmE0EdEvPT3_S3_, .Lfunc_end31-_Z16warp_load_kernelILj256ELj32ELj32ELN6hipcub17WarpLoadAlgorithmE0EdEvPT3_S3_
                                        ; -- End function
	.section	.AMDGPU.csdata,"",@progbits
; Kernel info:
; codeLenInByte = 1584
; NumSgprs: 18
; NumVgprs: 92
; ScratchSize: 0
; MemoryBound: 1
; FloatMode: 240
; IeeeMode: 1
; LDSByteSize: 0 bytes/workgroup (compile time only)
; SGPRBlocks: 2
; VGPRBlocks: 11
; NumSGPRsForWavesPerEU: 18
; NumVGPRsForWavesPerEU: 92
; Occupancy: 16
; WaveLimiterHint : 1
; COMPUTE_PGM_RSRC2:SCRATCH_EN: 0
; COMPUTE_PGM_RSRC2:USER_SGPR: 15
; COMPUTE_PGM_RSRC2:TRAP_HANDLER: 0
; COMPUTE_PGM_RSRC2:TGID_X_EN: 1
; COMPUTE_PGM_RSRC2:TGID_Y_EN: 0
; COMPUTE_PGM_RSRC2:TGID_Z_EN: 0
; COMPUTE_PGM_RSRC2:TIDIG_COMP_CNT: 0
	.section	.text._Z16warp_load_kernelILj256ELj32ELj32ELN6hipcub17WarpLoadAlgorithmE1EdEvPT3_S3_,"axG",@progbits,_Z16warp_load_kernelILj256ELj32ELj32ELN6hipcub17WarpLoadAlgorithmE1EdEvPT3_S3_,comdat
	.protected	_Z16warp_load_kernelILj256ELj32ELj32ELN6hipcub17WarpLoadAlgorithmE1EdEvPT3_S3_ ; -- Begin function _Z16warp_load_kernelILj256ELj32ELj32ELN6hipcub17WarpLoadAlgorithmE1EdEvPT3_S3_
	.globl	_Z16warp_load_kernelILj256ELj32ELj32ELN6hipcub17WarpLoadAlgorithmE1EdEvPT3_S3_
	.p2align	8
	.type	_Z16warp_load_kernelILj256ELj32ELj32ELN6hipcub17WarpLoadAlgorithmE1EdEvPT3_S3_,@function
_Z16warp_load_kernelILj256ELj32ELj32ELN6hipcub17WarpLoadAlgorithmE1EdEvPT3_S3_: ; @_Z16warp_load_kernelILj256ELj32ELj32ELN6hipcub17WarpLoadAlgorithmE1EdEvPT3_S3_
; %bb.0:
	s_load_b128 s[0:3], s[0:1], 0x0
	v_dual_mov_b32 v2, 0 :: v_dual_lshlrev_b32 v1, 5, v0
	s_lshl_b32 s4, s15, 13
	v_mbcnt_lo_u32_b32 v5, -1, 0
	s_delay_alu instid0(VALU_DEP_2) | instskip(NEXT) | instid1(VALU_DEP_3)
	v_and_or_b32 v1, 0x1c00, v1, s4
	v_mov_b32_e32 v70, v2
	v_mov_b32_e32 v71, v2
	;; [unrolled: 1-line block ×4, first 2 shown]
	v_lshlrev_b64 v[3:4], 3, v[1:2]
	v_lshlrev_b32_e32 v1, 3, v5
	v_mov_b32_e32 v75, v2
	v_mov_b32_e32 v77, v2
	;; [unrolled: 1-line block ×7, first 2 shown]
	s_waitcnt lgkmcnt(0)
	v_add_co_u32 v3, vcc_lo, s0, v3
	v_add_co_ci_u32_e32 v4, vcc_lo, s1, v4, vcc_lo
	v_mov_b32_e32 v88, v2
	s_delay_alu instid0(VALU_DEP_3) | instskip(NEXT) | instid1(VALU_DEP_3)
	v_add_co_u32 v3, vcc_lo, v3, v1
	v_add_co_ci_u32_e32 v4, vcc_lo, 0, v4, vcc_lo
	v_or_b32_e32 v1, s4, v0
	s_delay_alu instid0(VALU_DEP_3)
	v_add_co_u32 v29, vcc_lo, 0x1000, v3
	s_clause 0xb
	global_load_b64 v[5:6], v[3:4], off
	global_load_b64 v[7:8], v[3:4], off offset:256
	global_load_b64 v[9:10], v[3:4], off offset:512
	;; [unrolled: 1-line block ×11, first 2 shown]
	v_add_co_ci_u32_e32 v30, vcc_lo, 0, v4, vcc_lo
	s_clause 0x13
	global_load_b64 v[31:32], v[3:4], off offset:3072
	global_load_b64 v[33:34], v[3:4], off offset:3328
	;; [unrolled: 1-line block ×4, first 2 shown]
	global_load_b64 v[37:38], v[29:30], off
	global_load_b64 v[39:40], v[29:30], off offset:256
	global_load_b64 v[41:42], v[29:30], off offset:512
	;; [unrolled: 1-line block ×15, first 2 shown]
	v_or_b32_e32 v67, 0x200, v1
	v_lshlrev_b64 v[82:83], 3, v[1:2]
	v_or_b32_e32 v69, 0x300, v1
	v_or_b32_e32 v72, 0x500, v1
	;; [unrolled: 1-line block ×3, first 2 shown]
	v_lshlrev_b64 v[67:68], 3, v[67:68]
	v_or_b32_e32 v76, 0x700, v1
	v_add_co_u32 v82, vcc_lo, s2, v82
	v_lshlrev_b64 v[69:70], 3, v[69:70]
	v_add_co_ci_u32_e32 v83, vcc_lo, s3, v83, vcc_lo
	v_add_co_u32 v67, vcc_lo, s2, v67
	v_add_co_ci_u32_e32 v68, vcc_lo, s3, v68, vcc_lo
	v_or_b32_e32 v79, 0x900, v1
	v_or_b32_e32 v85, 0xc00, v1
	;; [unrolled: 1-line block ×3, first 2 shown]
	v_mov_b32_e32 v90, v2
	v_or_b32_e32 v89, 0x1200, v1
	v_mov_b32_e32 v94, v2
	v_or_b32_e32 v93, 0x1c00, v1
	s_waitcnt vmcnt(31)
	global_store_b64 v[82:83], v[5:6], off
	s_waitcnt vmcnt(30)
	global_store_b64 v[82:83], v[7:8], off offset:2048
	v_add_co_u32 v82, vcc_lo, s2, v69
	v_add_co_ci_u32_e32 v83, vcc_lo, s3, v70, vcc_lo
	v_or_b32_e32 v70, 0x400, v1
	s_waitcnt vmcnt(29)
	global_store_b64 v[67:68], v[9:10], off
	v_mov_b32_e32 v6, v2
	v_or_b32_e32 v5, 0xe00, v1
	v_mov_b32_e32 v8, v2
	v_lshlrev_b64 v[67:68], 3, v[70:71]
	v_lshlrev_b64 v[70:71], 3, v[72:73]
	;; [unrolled: 1-line block ×3, first 2 shown]
	v_mov_b32_e32 v74, v2
	v_or_b32_e32 v75, 0x1600, v1
	v_or_b32_e32 v7, 0xf00, v1
	v_add_co_u32 v67, vcc_lo, s2, v67
	v_add_co_ci_u32_e32 v68, vcc_lo, s3, v68, vcc_lo
	v_add_co_u32 v70, vcc_lo, s2, v70
	v_add_co_ci_u32_e32 v71, vcc_lo, s3, v71, vcc_lo
	s_waitcnt vmcnt(27)
	global_store_b64 v[67:68], v[13:14], off
	v_lshlrev_b64 v[67:68], 3, v[76:77]
	v_add_co_u32 v72, vcc_lo, s2, v72
	v_add_co_ci_u32_e32 v73, vcc_lo, s3, v73, vcc_lo
	v_or_b32_e32 v77, 0x800, v1
	s_delay_alu instid0(VALU_DEP_4)
	v_add_co_u32 v67, vcc_lo, s2, v67
	v_add_co_ci_u32_e32 v68, vcc_lo, s3, v68, vcc_lo
	global_store_b64 v[82:83], v[11:12], off
	s_waitcnt vmcnt(25)
	global_store_b64 v[72:73], v[17:18], off
	v_lshlrev_b64 v[72:73], 3, v[77:78]
	s_waitcnt vmcnt(24)
	global_store_b64 v[67:68], v[19:20], off
	v_lshlrev_b64 v[67:68], 3, v[79:80]
	v_or_b32_e32 v80, 0xa00, v1
	v_or_b32_e32 v83, 0xb00, v1
	v_mov_b32_e32 v76, v2
	v_add_co_u32 v72, vcc_lo, s2, v72
	v_add_co_ci_u32_e32 v73, vcc_lo, s3, v73, vcc_lo
	v_lshlrev_b64 v[79:80], 3, v[80:81]
	global_store_b64 v[70:71], v[15:16], off
	v_or_b32_e32 v77, 0x1a00, v1
	s_waitcnt vmcnt(23)
	global_store_b64 v[72:73], v[21:22], off
	v_or_b32_e32 v73, 0x1400, v1
	v_add_co_u32 v91, vcc_lo, s2, v67
	v_lshlrev_b64 v[81:82], 3, v[83:84]
	v_add_co_ci_u32_e32 v92, vcc_lo, s3, v68, vcc_lo
	v_lshlrev_b64 v[83:84], 3, v[85:86]
	v_lshlrev_b64 v[72:73], 3, v[73:74]
	;; [unrolled: 1-line block ×4, first 2 shown]
	v_add_co_u32 v78, vcc_lo, s2, v79
	v_add_co_ci_u32_e32 v79, vcc_lo, s3, v80, vcc_lo
	v_lshlrev_b64 v[85:86], 3, v[87:88]
	v_add_co_u32 v80, vcc_lo, s2, v81
	v_add_co_ci_u32_e32 v81, vcc_lo, s3, v82, vcc_lo
	v_lshlrev_b64 v[5:6], 3, v[5:6]
	v_add_co_u32 v82, vcc_lo, s2, v83
	v_mov_b32_e32 v69, v2
	v_or_b32_e32 v68, 0x1000, v1
	v_add_co_ci_u32_e32 v83, vcc_lo, s3, v84, vcc_lo
	v_lshlrev_b64 v[7:8], 3, v[7:8]
	v_add_co_u32 v84, vcc_lo, s2, v85
	v_mov_b32_e32 v10, v2
	v_or_b32_e32 v9, 0x1100, v1
	v_add_co_ci_u32_e32 v85, vcc_lo, s3, v86, vcc_lo
	v_lshlrev_b64 v[67:68], 3, v[68:69]
	v_add_co_u32 v5, vcc_lo, s2, v5
	v_add_co_ci_u32_e32 v6, vcc_lo, s3, v6, vcc_lo
	v_lshlrev_b64 v[9:10], 3, v[9:10]
	v_add_co_u32 v7, vcc_lo, s2, v7
	v_mov_b32_e32 v12, v2
	v_or_b32_e32 v11, 0x1300, v1
	v_add_co_ci_u32_e32 v8, vcc_lo, s3, v8, vcc_lo
	v_lshlrev_b64 v[87:88], 3, v[89:90]
	v_add_co_u32 v67, vcc_lo, s2, v67
	v_add_co_ci_u32_e32 v68, vcc_lo, s3, v68, vcc_lo
	v_lshlrev_b64 v[11:12], 3, v[11:12]
	v_add_co_u32 v9, vcc_lo, s2, v9
	v_mov_b32_e32 v14, v2
	v_or_b32_e32 v13, 0x1500, v1
	v_add_co_ci_u32_e32 v10, vcc_lo, s3, v10, vcc_lo
	v_add_co_u32 v86, vcc_lo, s2, v87
	v_mov_b32_e32 v71, v2
	v_or_b32_e32 v70, 0x1800, v1
	v_add_co_ci_u32_e32 v87, vcc_lo, s3, v88, vcc_lo
	v_lshlrev_b64 v[13:14], 3, v[13:14]
	v_add_co_u32 v11, vcc_lo, s2, v11
	v_mov_b32_e32 v16, v2
	v_or_b32_e32 v15, 0x1700, v1
	v_add_co_ci_u32_e32 v12, vcc_lo, s3, v12, vcc_lo
	v_lshlrev_b64 v[69:70], 3, v[70:71]
	v_add_co_u32 v71, vcc_lo, s2, v72
	v_add_co_ci_u32_e32 v72, vcc_lo, s3, v73, vcc_lo
	v_lshlrev_b64 v[15:16], 3, v[15:16]
	v_add_co_u32 v13, vcc_lo, s2, v13
	v_mov_b32_e32 v18, v2
	v_or_b32_e32 v17, 0x1900, v1
	v_add_co_ci_u32_e32 v14, vcc_lo, s3, v14, vcc_lo
	v_add_co_u32 v73, vcc_lo, s2, v74
	v_add_co_ci_u32_e32 v74, vcc_lo, s3, v75, vcc_lo
	s_delay_alu instid0(VALU_DEP_4)
	v_lshlrev_b64 v[17:18], 3, v[17:18]
	v_add_co_u32 v15, vcc_lo, s2, v15
	v_mov_b32_e32 v20, v2
	v_or_b32_e32 v19, 0x1b00, v1
	v_add_co_ci_u32_e32 v16, vcc_lo, s3, v16, vcc_lo
	v_add_co_u32 v69, vcc_lo, s2, v69
	v_add_co_ci_u32_e32 v70, vcc_lo, s3, v70, vcc_lo
	s_delay_alu instid0(VALU_DEP_4)
	v_lshlrev_b64 v[19:20], 3, v[19:20]
	v_add_co_u32 v17, vcc_lo, s2, v17
	v_mov_b32_e32 v22, v2
	v_or_b32_e32 v21, 0x1d00, v1
	v_add_co_ci_u32_e32 v18, vcc_lo, s3, v18, vcc_lo
	v_lshlrev_b64 v[89:90], 3, v[93:94]
	v_add_co_u32 v75, vcc_lo, s2, v76
	v_or_b32_e32 v93, 0x1e00, v1
	v_add_co_ci_u32_e32 v76, vcc_lo, s3, v77, vcc_lo
	v_lshlrev_b64 v[21:22], 3, v[21:22]
	v_add_co_u32 v19, vcc_lo, s2, v19
	v_or_b32_e32 v1, 0x1f00, v1
	v_add_co_ci_u32_e32 v20, vcc_lo, s3, v20, vcc_lo
	v_add_co_u32 v88, vcc_lo, s2, v89
	v_lshlrev_b64 v[93:94], 3, v[93:94]
	v_add_co_ci_u32_e32 v89, vcc_lo, s3, v90, vcc_lo
	v_add_co_u32 v21, vcc_lo, s2, v21
	v_lshlrev_b64 v[0:1], 3, v[1:2]
	v_add_co_ci_u32_e32 v22, vcc_lo, s3, v22, vcc_lo
	v_add_co_u32 v93, vcc_lo, s2, v93
	v_add_co_ci_u32_e32 v94, vcc_lo, s3, v94, vcc_lo
	s_delay_alu instid0(VALU_DEP_4)
	v_add_co_u32 v0, vcc_lo, s2, v0
	v_add_co_ci_u32_e32 v1, vcc_lo, s3, v1, vcc_lo
	s_waitcnt vmcnt(22)
	global_store_b64 v[91:92], v[23:24], off
	s_waitcnt vmcnt(21)
	global_store_b64 v[78:79], v[25:26], off
	;; [unrolled: 2-line block ×23, first 2 shown]
	s_nop 0
	s_sendmsg sendmsg(MSG_DEALLOC_VGPRS)
	s_endpgm
	.section	.rodata,"a",@progbits
	.p2align	6, 0x0
	.amdhsa_kernel _Z16warp_load_kernelILj256ELj32ELj32ELN6hipcub17WarpLoadAlgorithmE1EdEvPT3_S3_
		.amdhsa_group_segment_fixed_size 0
		.amdhsa_private_segment_fixed_size 0
		.amdhsa_kernarg_size 16
		.amdhsa_user_sgpr_count 15
		.amdhsa_user_sgpr_dispatch_ptr 0
		.amdhsa_user_sgpr_queue_ptr 0
		.amdhsa_user_sgpr_kernarg_segment_ptr 1
		.amdhsa_user_sgpr_dispatch_id 0
		.amdhsa_user_sgpr_private_segment_size 0
		.amdhsa_wavefront_size32 1
		.amdhsa_uses_dynamic_stack 0
		.amdhsa_enable_private_segment 0
		.amdhsa_system_sgpr_workgroup_id_x 1
		.amdhsa_system_sgpr_workgroup_id_y 0
		.amdhsa_system_sgpr_workgroup_id_z 0
		.amdhsa_system_sgpr_workgroup_info 0
		.amdhsa_system_vgpr_workitem_id 0
		.amdhsa_next_free_vgpr 95
		.amdhsa_next_free_sgpr 16
		.amdhsa_reserve_vcc 1
		.amdhsa_float_round_mode_32 0
		.amdhsa_float_round_mode_16_64 0
		.amdhsa_float_denorm_mode_32 3
		.amdhsa_float_denorm_mode_16_64 3
		.amdhsa_dx10_clamp 1
		.amdhsa_ieee_mode 1
		.amdhsa_fp16_overflow 0
		.amdhsa_workgroup_processor_mode 1
		.amdhsa_memory_ordered 1
		.amdhsa_forward_progress 0
		.amdhsa_shared_vgpr_count 0
		.amdhsa_exception_fp_ieee_invalid_op 0
		.amdhsa_exception_fp_denorm_src 0
		.amdhsa_exception_fp_ieee_div_zero 0
		.amdhsa_exception_fp_ieee_overflow 0
		.amdhsa_exception_fp_ieee_underflow 0
		.amdhsa_exception_fp_ieee_inexact 0
		.amdhsa_exception_int_div_zero 0
	.end_amdhsa_kernel
	.section	.text._Z16warp_load_kernelILj256ELj32ELj32ELN6hipcub17WarpLoadAlgorithmE1EdEvPT3_S3_,"axG",@progbits,_Z16warp_load_kernelILj256ELj32ELj32ELN6hipcub17WarpLoadAlgorithmE1EdEvPT3_S3_,comdat
.Lfunc_end32:
	.size	_Z16warp_load_kernelILj256ELj32ELj32ELN6hipcub17WarpLoadAlgorithmE1EdEvPT3_S3_, .Lfunc_end32-_Z16warp_load_kernelILj256ELj32ELj32ELN6hipcub17WarpLoadAlgorithmE1EdEvPT3_S3_
                                        ; -- End function
	.section	.AMDGPU.csdata,"",@progbits
; Kernel info:
; codeLenInByte = 1748
; NumSgprs: 18
; NumVgprs: 95
; ScratchSize: 0
; MemoryBound: 1
; FloatMode: 240
; IeeeMode: 1
; LDSByteSize: 0 bytes/workgroup (compile time only)
; SGPRBlocks: 2
; VGPRBlocks: 11
; NumSGPRsForWavesPerEU: 18
; NumVGPRsForWavesPerEU: 95
; Occupancy: 16
; WaveLimiterHint : 1
; COMPUTE_PGM_RSRC2:SCRATCH_EN: 0
; COMPUTE_PGM_RSRC2:USER_SGPR: 15
; COMPUTE_PGM_RSRC2:TRAP_HANDLER: 0
; COMPUTE_PGM_RSRC2:TGID_X_EN: 1
; COMPUTE_PGM_RSRC2:TGID_Y_EN: 0
; COMPUTE_PGM_RSRC2:TGID_Z_EN: 0
; COMPUTE_PGM_RSRC2:TIDIG_COMP_CNT: 0
	.section	.text._Z16warp_load_kernelILj256ELj32ELj32ELN6hipcub17WarpLoadAlgorithmE2EdEvPT3_S3_,"axG",@progbits,_Z16warp_load_kernelILj256ELj32ELj32ELN6hipcub17WarpLoadAlgorithmE2EdEvPT3_S3_,comdat
	.protected	_Z16warp_load_kernelILj256ELj32ELj32ELN6hipcub17WarpLoadAlgorithmE2EdEvPT3_S3_ ; -- Begin function _Z16warp_load_kernelILj256ELj32ELj32ELN6hipcub17WarpLoadAlgorithmE2EdEvPT3_S3_
	.globl	_Z16warp_load_kernelILj256ELj32ELj32ELN6hipcub17WarpLoadAlgorithmE2EdEvPT3_S3_
	.p2align	8
	.type	_Z16warp_load_kernelILj256ELj32ELj32ELN6hipcub17WarpLoadAlgorithmE2EdEvPT3_S3_,@function
_Z16warp_load_kernelILj256ELj32ELj32ELN6hipcub17WarpLoadAlgorithmE2EdEvPT3_S3_: ; @_Z16warp_load_kernelILj256ELj32ELj32ELN6hipcub17WarpLoadAlgorithmE2EdEvPT3_S3_
; %bb.0:
	s_load_b128 s[0:3], s[0:1], 0x0
	v_dual_mov_b32 v14, 0 :: v_dual_lshlrev_b32 v1, 5, v0
	s_lshl_b32 s4, s15, 13
	v_mbcnt_lo_u32_b32 v3, -1, 0
	s_delay_alu instid0(VALU_DEP_2) | instskip(NEXT) | instid1(VALU_DEP_3)
	v_and_or_b32 v13, 0x1c00, v1, s4
	v_mov_b32_e32 v68, v14
	s_delay_alu instid0(VALU_DEP_3) | instskip(SKIP_1) | instid1(VALU_DEP_4)
	v_dual_mov_b32 v70, v14 :: v_dual_lshlrev_b32 v3, 8, v3
	v_mov_b32_e32 v71, v14
	v_lshlrev_b64 v[1:2], 3, v[13:14]
	v_or_b32_e32 v13, s4, v0
	v_mov_b32_e32 v73, v14
	v_mov_b32_e32 v75, v14
	;; [unrolled: 1-line block ×4, first 2 shown]
	v_or_b32_e32 v67, 0x200, v13
	v_lshlrev_b64 v[83:84], 3, v[13:14]
	v_or_b32_e32 v69, 0x300, v13
	s_waitcnt lgkmcnt(0)
	v_add_co_u32 v1, vcc_lo, s0, v1
	v_add_co_ci_u32_e32 v2, vcc_lo, s1, v2, vcc_lo
	v_lshlrev_b64 v[67:68], 3, v[67:68]
	s_delay_alu instid0(VALU_DEP_3) | instskip(NEXT) | instid1(VALU_DEP_3)
	v_add_co_u32 v63, vcc_lo, v1, v3
	v_add_co_ci_u32_e32 v64, vcc_lo, 0, v2, vcc_lo
	v_add_co_u32 v83, vcc_lo, s2, v83
	v_lshlrev_b64 v[69:70], 3, v[69:70]
	s_clause 0xf
	global_load_b128 v[15:18], v[63:64], off
	global_load_b128 v[19:22], v[63:64], off offset:16
	global_load_b128 v[23:26], v[63:64], off offset:32
	;; [unrolled: 1-line block ×15, first 2 shown]
	v_add_co_ci_u32_e32 v84, vcc_lo, s3, v84, vcc_lo
	v_add_co_u32 v67, vcc_lo, s2, v67
	v_add_co_ci_u32_e32 v68, vcc_lo, s3, v68, vcc_lo
	v_or_b32_e32 v72, 0x500, v13
	v_or_b32_e32 v74, 0x600, v13
	;; [unrolled: 1-line block ×3, first 2 shown]
	v_mov_b32_e32 v80, v14
	v_or_b32_e32 v79, 0x900, v13
	v_lshlrev_b64 v[72:73], 3, v[72:73]
	v_lshlrev_b64 v[74:75], 3, v[74:75]
	;; [unrolled: 1-line block ×3, first 2 shown]
	v_mov_b32_e32 v82, v14
	v_or_b32_e32 v81, 0xa00, v13
	v_mov_b32_e32 v85, v14
	v_mov_b32_e32 v87, v14
	v_or_b32_e32 v86, 0xc00, v13
	v_mov_b32_e32 v89, v14
	v_or_b32_e32 v88, 0xd00, v13
	;; [unrolled: 2-line block ×3, first 2 shown]
	v_lshlrev_b64 v[86:87], 3, v[86:87]
	s_waitcnt vmcnt(15)
	s_clause 0x1
	global_store_b64 v[83:84], v[15:16], off
	global_store_b64 v[83:84], v[17:18], off offset:2048
	v_add_co_u32 v83, vcc_lo, s2, v69
	v_add_co_ci_u32_e32 v84, vcc_lo, s3, v70, vcc_lo
	v_or_b32_e32 v70, 0x400, v13
	s_waitcnt vmcnt(14)
	global_store_b64 v[67:68], v[19:20], off
	v_mov_b32_e32 v16, v14
	global_store_b64 v[83:84], v[21:22], off
	v_or_b32_e32 v84, 0xb00, v13
	v_lshlrev_b64 v[67:68], 3, v[70:71]
	v_mov_b32_e32 v83, v14
	v_or_b32_e32 v15, 0xe00, v13
	v_lshlrev_b64 v[88:89], 3, v[88:89]
	v_lshlrev_b64 v[84:85], 3, v[84:85]
	v_mov_b32_e32 v18, v14
	v_add_co_u32 v67, vcc_lo, s2, v67
	v_add_co_ci_u32_e32 v68, vcc_lo, s3, v68, vcc_lo
	v_add_co_u32 v72, vcc_lo, s2, v72
	v_add_co_ci_u32_e32 v73, vcc_lo, s3, v73, vcc_lo
	;; [unrolled: 2-line block ×3, first 2 shown]
	s_waitcnt vmcnt(13)
	s_clause 0x1
	global_store_b64 v[67:68], v[23:24], off
	global_store_b64 v[72:73], v[25:26], off
	v_add_co_u32 v67, vcc_lo, s2, v76
	v_add_co_ci_u32_e32 v68, vcc_lo, s3, v77, vcc_lo
	v_or_b32_e32 v77, 0x800, v13
	s_waitcnt vmcnt(12)
	global_store_b64 v[74:75], v[27:28], off
	v_or_b32_e32 v17, 0xf00, v13
	global_store_b64 v[67:68], v[29:30], off
	v_lshlrev_b64 v[67:68], 3, v[79:80]
	v_lshlrev_b64 v[74:75], 3, v[77:78]
	v_lshlrev_b64 v[79:80], 3, v[81:82]
	v_or_b32_e32 v82, 0x1400, v13
	v_lshlrev_b64 v[15:16], 3, v[15:16]
	v_mov_b32_e32 v69, v14
	v_lshlrev_b64 v[17:18], 3, v[17:18]
	v_add_co_u32 v74, vcc_lo, s2, v74
	v_add_co_ci_u32_e32 v75, vcc_lo, s3, v75, vcc_lo
	v_add_co_u32 v67, vcc_lo, s2, v67
	v_add_co_ci_u32_e32 v68, vcc_lo, s3, v68, vcc_lo
	;; [unrolled: 2-line block ×3, first 2 shown]
	v_lshlrev_b64 v[81:82], 3, v[82:83]
	v_add_co_u32 v83, vcc_lo, s2, v84
	v_add_co_ci_u32_e32 v84, vcc_lo, s3, v85, vcc_lo
	v_add_co_u32 v85, vcc_lo, s2, v86
	s_waitcnt vmcnt(11)
	s_clause 0x1
	global_store_b64 v[74:75], v[31:32], off
	global_store_b64 v[67:68], v[33:34], off
	v_or_b32_e32 v68, 0x1000, v13
	v_add_co_ci_u32_e32 v86, vcc_lo, s3, v87, vcc_lo
	v_add_co_u32 v87, vcc_lo, s2, v88
	v_mov_b32_e32 v20, v14
	v_or_b32_e32 v19, 0x1100, v13
	v_add_co_ci_u32_e32 v88, vcc_lo, s3, v89, vcc_lo
	v_lshlrev_b64 v[67:68], 3, v[68:69]
	v_add_co_u32 v15, vcc_lo, s2, v15
	v_mov_b32_e32 v22, v14
	v_or_b32_e32 v21, 0x1200, v13
	v_add_co_ci_u32_e32 v16, vcc_lo, s3, v16, vcc_lo
	v_lshlrev_b64 v[19:20], 3, v[19:20]
	v_add_co_u32 v17, vcc_lo, s2, v17
	v_or_b32_e32 v70, 0x1300, v13
	v_add_co_ci_u32_e32 v18, vcc_lo, s3, v18, vcc_lo
	v_lshlrev_b64 v[21:22], 3, v[21:22]
	v_add_co_u32 v67, vcc_lo, s2, v67
	v_add_co_ci_u32_e32 v68, vcc_lo, s3, v68, vcc_lo
	v_lshlrev_b64 v[69:70], 3, v[70:71]
	v_add_co_u32 v19, vcc_lo, s2, v19
	v_mov_b32_e32 v24, v14
	v_or_b32_e32 v23, 0x1500, v13
	v_add_co_ci_u32_e32 v20, vcc_lo, s3, v20, vcc_lo
	v_add_co_u32 v21, vcc_lo, s2, v21
	v_mov_b32_e32 v26, v14
	v_or_b32_e32 v25, 0x1600, v13
	v_add_co_ci_u32_e32 v22, vcc_lo, s3, v22, vcc_lo
	v_lshlrev_b64 v[23:24], 3, v[23:24]
	v_add_co_u32 v69, vcc_lo, s2, v69
	v_mov_b32_e32 v73, v14
	v_or_b32_e32 v72, 0x1700, v13
	v_add_co_ci_u32_e32 v70, vcc_lo, s3, v70, vcc_lo
	v_lshlrev_b64 v[25:26], 3, v[25:26]
	;; [unrolled: 5-line block ×5, first 2 shown]
	v_add_co_u32 v71, vcc_lo, s2, v71
	v_or_b32_e32 v77, 0x1b00, v13
	v_add_co_ci_u32_e32 v72, vcc_lo, s3, v72, vcc_lo
	v_lshlrev_b64 v[29:30], 3, v[29:30]
	v_add_co_u32 v73, vcc_lo, s2, v73
	v_add_co_ci_u32_e32 v74, vcc_lo, s3, v74, vcc_lo
	v_lshlrev_b64 v[75:76], 3, v[77:78]
	v_add_co_u32 v27, vcc_lo, s2, v27
	v_mov_b32_e32 v32, v14
	v_or_b32_e32 v31, 0x1d00, v13
	v_add_co_ci_u32_e32 v28, vcc_lo, s3, v28, vcc_lo
	v_lshlrev_b64 v[77:78], 3, v[90:91]
	v_add_co_u32 v29, vcc_lo, s2, v29
	v_mov_b32_e32 v34, v14
	v_or_b32_e32 v33, 0x1e00, v13
	v_add_co_ci_u32_e32 v30, vcc_lo, s3, v30, vcc_lo
	v_lshlrev_b64 v[31:32], 3, v[31:32]
	v_add_co_u32 v75, vcc_lo, s2, v75
	v_or_b32_e32 v13, 0x1f00, v13
	v_add_co_ci_u32_e32 v76, vcc_lo, s3, v76, vcc_lo
	v_lshlrev_b64 v[33:34], 3, v[33:34]
	v_add_co_u32 v77, vcc_lo, s2, v77
	v_add_co_ci_u32_e32 v78, vcc_lo, s3, v78, vcc_lo
	v_lshlrev_b64 v[13:14], 3, v[13:14]
	v_add_co_u32 v31, vcc_lo, s2, v31
	v_add_co_ci_u32_e32 v32, vcc_lo, s3, v32, vcc_lo
	v_add_co_u32 v33, vcc_lo, s2, v33
	v_add_co_ci_u32_e32 v34, vcc_lo, s3, v34, vcc_lo
	;; [unrolled: 2-line block ×3, first 2 shown]
	s_waitcnt vmcnt(10)
	s_clause 0x1
	global_store_b64 v[79:80], v[9:10], off
	global_store_b64 v[83:84], v[11:12], off
	s_waitcnt vmcnt(9)
	s_clause 0x1
	global_store_b64 v[85:86], v[5:6], off
	global_store_b64 v[87:88], v[7:8], off
	;; [unrolled: 4-line block ×11, first 2 shown]
	s_nop 0
	s_sendmsg sendmsg(MSG_DEALLOC_VGPRS)
	s_endpgm
	.section	.rodata,"a",@progbits
	.p2align	6, 0x0
	.amdhsa_kernel _Z16warp_load_kernelILj256ELj32ELj32ELN6hipcub17WarpLoadAlgorithmE2EdEvPT3_S3_
		.amdhsa_group_segment_fixed_size 0
		.amdhsa_private_segment_fixed_size 0
		.amdhsa_kernarg_size 16
		.amdhsa_user_sgpr_count 15
		.amdhsa_user_sgpr_dispatch_ptr 0
		.amdhsa_user_sgpr_queue_ptr 0
		.amdhsa_user_sgpr_kernarg_segment_ptr 1
		.amdhsa_user_sgpr_dispatch_id 0
		.amdhsa_user_sgpr_private_segment_size 0
		.amdhsa_wavefront_size32 1
		.amdhsa_uses_dynamic_stack 0
		.amdhsa_enable_private_segment 0
		.amdhsa_system_sgpr_workgroup_id_x 1
		.amdhsa_system_sgpr_workgroup_id_y 0
		.amdhsa_system_sgpr_workgroup_id_z 0
		.amdhsa_system_sgpr_workgroup_info 0
		.amdhsa_system_vgpr_workitem_id 0
		.amdhsa_next_free_vgpr 92
		.amdhsa_next_free_sgpr 16
		.amdhsa_reserve_vcc 1
		.amdhsa_float_round_mode_32 0
		.amdhsa_float_round_mode_16_64 0
		.amdhsa_float_denorm_mode_32 3
		.amdhsa_float_denorm_mode_16_64 3
		.amdhsa_dx10_clamp 1
		.amdhsa_ieee_mode 1
		.amdhsa_fp16_overflow 0
		.amdhsa_workgroup_processor_mode 1
		.amdhsa_memory_ordered 1
		.amdhsa_forward_progress 0
		.amdhsa_shared_vgpr_count 0
		.amdhsa_exception_fp_ieee_invalid_op 0
		.amdhsa_exception_fp_denorm_src 0
		.amdhsa_exception_fp_ieee_div_zero 0
		.amdhsa_exception_fp_ieee_overflow 0
		.amdhsa_exception_fp_ieee_underflow 0
		.amdhsa_exception_fp_ieee_inexact 0
		.amdhsa_exception_int_div_zero 0
	.end_amdhsa_kernel
	.section	.text._Z16warp_load_kernelILj256ELj32ELj32ELN6hipcub17WarpLoadAlgorithmE2EdEvPT3_S3_,"axG",@progbits,_Z16warp_load_kernelILj256ELj32ELj32ELN6hipcub17WarpLoadAlgorithmE2EdEvPT3_S3_,comdat
.Lfunc_end33:
	.size	_Z16warp_load_kernelILj256ELj32ELj32ELN6hipcub17WarpLoadAlgorithmE2EdEvPT3_S3_, .Lfunc_end33-_Z16warp_load_kernelILj256ELj32ELj32ELN6hipcub17WarpLoadAlgorithmE2EdEvPT3_S3_
                                        ; -- End function
	.section	.AMDGPU.csdata,"",@progbits
; Kernel info:
; codeLenInByte = 1584
; NumSgprs: 18
; NumVgprs: 92
; ScratchSize: 0
; MemoryBound: 1
; FloatMode: 240
; IeeeMode: 1
; LDSByteSize: 0 bytes/workgroup (compile time only)
; SGPRBlocks: 2
; VGPRBlocks: 11
; NumSGPRsForWavesPerEU: 18
; NumVGPRsForWavesPerEU: 92
; Occupancy: 16
; WaveLimiterHint : 1
; COMPUTE_PGM_RSRC2:SCRATCH_EN: 0
; COMPUTE_PGM_RSRC2:USER_SGPR: 15
; COMPUTE_PGM_RSRC2:TRAP_HANDLER: 0
; COMPUTE_PGM_RSRC2:TGID_X_EN: 1
; COMPUTE_PGM_RSRC2:TGID_Y_EN: 0
; COMPUTE_PGM_RSRC2:TGID_Z_EN: 0
; COMPUTE_PGM_RSRC2:TIDIG_COMP_CNT: 0
	.section	.text._Z16warp_load_kernelILj256ELj64ELj32ELN6hipcub17WarpLoadAlgorithmE0EdEvPT3_S3_,"axG",@progbits,_Z16warp_load_kernelILj256ELj64ELj32ELN6hipcub17WarpLoadAlgorithmE0EdEvPT3_S3_,comdat
	.protected	_Z16warp_load_kernelILj256ELj64ELj32ELN6hipcub17WarpLoadAlgorithmE0EdEvPT3_S3_ ; -- Begin function _Z16warp_load_kernelILj256ELj64ELj32ELN6hipcub17WarpLoadAlgorithmE0EdEvPT3_S3_
	.globl	_Z16warp_load_kernelILj256ELj64ELj32ELN6hipcub17WarpLoadAlgorithmE0EdEvPT3_S3_
	.p2align	8
	.type	_Z16warp_load_kernelILj256ELj64ELj32ELN6hipcub17WarpLoadAlgorithmE0EdEvPT3_S3_,@function
_Z16warp_load_kernelILj256ELj64ELj32ELN6hipcub17WarpLoadAlgorithmE0EdEvPT3_S3_: ; @_Z16warp_load_kernelILj256ELj64ELj32ELN6hipcub17WarpLoadAlgorithmE0EdEvPT3_S3_
; %bb.0:
	s_load_b128 s[0:3], s[0:1], 0x0
	v_mov_b32_e32 v117, 0
	v_lshlrev_b32_e32 v1, 6, v0
	s_lshl_b32 s4, s15, 14
	v_mbcnt_lo_u32_b32 v3, -1, 0
	s_delay_alu instid0(VALU_DEP_3) | instskip(NEXT) | instid1(VALU_DEP_3)
	v_mov_b32_e32 v131, v117
	v_and_or_b32 v116, 0x3800, v1, s4
	v_mov_b32_e32 v133, v117
	s_delay_alu instid0(VALU_DEP_4) | instskip(SKIP_1) | instid1(VALU_DEP_4)
	v_lshlrev_b32_e32 v3, 9, v3
	v_mov_b32_e32 v141, v117
	v_lshlrev_b64 v[1:2], 3, v[116:117]
	v_or_b32_e32 v116, s4, v0
	s_delay_alu instid0(VALU_DEP_1) | instskip(SKIP_2) | instid1(VALU_DEP_4)
	v_or_b32_e32 v0, 0x200, v116
	v_lshlrev_b64 v[4:5], 3, v[116:117]
	s_waitcnt lgkmcnt(0)
	v_add_co_u32 v1, vcc_lo, s0, v1
	v_add_co_ci_u32_e32 v2, vcc_lo, s1, v2, vcc_lo
	v_or_b32_e32 v130, 0x400, v116
	s_delay_alu instid0(VALU_DEP_3) | instskip(NEXT) | instid1(VALU_DEP_3)
	v_add_co_u32 v12, vcc_lo, v1, v3
	v_add_co_ci_u32_e32 v13, vcc_lo, 0, v2, vcc_lo
	v_mov_b32_e32 v1, v117
	v_mov_b32_e32 v3, v117
	v_or_b32_e32 v2, 0x300, v116
	s_clause 0x13
	global_load_b128 v[118:121], v[12:13], off
	global_load_b128 v[122:125], v[12:13], off offset:16
	global_load_b128 v[126:129], v[12:13], off offset:32
	;; [unrolled: 1-line block ×19, first 2 shown]
	v_lshlrev_b64 v[0:1], 3, v[0:1]
	v_add_co_u32 v136, vcc_lo, s2, v4
	v_add_co_ci_u32_e32 v137, vcc_lo, s3, v5, vcc_lo
	v_lshlrev_b64 v[134:135], 3, v[2:3]
	s_delay_alu instid0(VALU_DEP_4)
	v_add_co_u32 v138, vcc_lo, s2, v0
	v_add_co_ci_u32_e32 v139, vcc_lo, s3, v1, vcc_lo
	s_clause 0xb
	global_load_b128 v[40:43], v[12:13], off offset:368
	global_load_b128 v[44:47], v[12:13], off offset:352
	;; [unrolled: 1-line block ×12, first 2 shown]
	v_or_b32_e32 v132, 0x500, v116
	v_lshlrev_b64 v[130:131], 3, v[130:131]
	v_add_co_u32 v134, vcc_lo, s2, v134
	v_add_co_ci_u32_e32 v135, vcc_lo, s3, v135, vcc_lo
	s_delay_alu instid0(VALU_DEP_4) | instskip(NEXT) | instid1(VALU_DEP_4)
	v_lshlrev_b64 v[132:133], 3, v[132:133]
	v_add_co_u32 v130, vcc_lo, s2, v130
	v_add_co_ci_u32_e32 v131, vcc_lo, s3, v131, vcc_lo
	v_or_b32_e32 v140, 0x2700, v116
	s_delay_alu instid0(VALU_DEP_4) | instskip(SKIP_1) | instid1(VALU_DEP_3)
	v_add_co_u32 v132, vcc_lo, s2, v132
	v_add_co_ci_u32_e32 v133, vcc_lo, s3, v133, vcc_lo
	v_lshlrev_b64 v[140:141], 3, v[140:141]
	s_waitcnt vmcnt(31)
	s_clause 0x1
	global_store_b64 v[136:137], v[118:119], off
	global_store_b64 v[136:137], v[120:121], off offset:2048
	v_mov_b32_e32 v119, v117
	v_or_b32_e32 v118, 0x600, v116
	v_mov_b32_e32 v121, v117
	v_or_b32_e32 v120, 0x700, v116
	v_mov_b32_e32 v136, v117
	s_waitcnt vmcnt(30)
	global_store_b64 v[138:139], v[122:123], off
	v_mov_b32_e32 v122, v117
	v_lshlrev_b64 v[118:119], 3, v[118:119]
	v_lshlrev_b64 v[120:121], 3, v[120:121]
	v_or_b32_e32 v123, 0xa00, v116
	v_mov_b32_e32 v137, v117
	v_mov_b32_e32 v139, v117
	v_or_b32_e32 v138, 0x2400, v116
	v_add_co_u32 v118, vcc_lo, s2, v118
	v_add_co_ci_u32_e32 v119, vcc_lo, s3, v119, vcc_lo
	v_add_co_u32 v120, vcc_lo, s2, v120
	v_add_co_ci_u32_e32 v121, vcc_lo, s3, v121, vcc_lo
	s_waitcnt vmcnt(28)
	s_clause 0x3
	global_store_b64 v[118:119], v[112:113], off
	global_store_b64 v[134:135], v[124:125], off
	;; [unrolled: 1-line block ×4, first 2 shown]
	v_or_b32_e32 v135, 0x800, v116
	v_or_b32_e32 v121, 0x900, v116
	v_mov_b32_e32 v124, v117
	v_mov_b32_e32 v134, v117
	;; [unrolled: 1-line block ×3, first 2 shown]
	v_lshlrev_b64 v[118:119], 3, v[135:136]
	v_lshlrev_b64 v[120:121], 3, v[121:122]
	;; [unrolled: 1-line block ×3, first 2 shown]
	v_or_b32_e32 v124, 0xc00, v116
	v_mov_b32_e32 v127, v117
	v_or_b32_e32 v126, 0xd00, v116
	v_add_co_u32 v118, vcc_lo, s2, v118
	v_add_co_ci_u32_e32 v119, vcc_lo, s3, v119, vcc_lo
	v_add_co_u32 v120, vcc_lo, s2, v120
	v_add_co_ci_u32_e32 v121, vcc_lo, s3, v121, vcc_lo
	global_store_b64 v[132:133], v[128:129], off
	v_or_b32_e32 v133, 0xb00, v116
	v_add_co_u32 v122, vcc_lo, s2, v122
	s_waitcnt vmcnt(27)
	global_store_b64 v[120:121], v[110:111], off
	v_add_co_ci_u32_e32 v123, vcc_lo, s3, v123, vcc_lo
	v_lshlrev_b64 v[133:134], 3, v[133:134]
	v_mov_b32_e32 v129, v117
	v_or_b32_e32 v128, 0xe00, v116
	v_mov_b32_e32 v131, v117
	v_or_b32_e32 v130, 0xf00, v116
	v_mov_b32_e32 v132, v117
	v_add_co_u32 v120, vcc_lo, s2, v133
	v_add_co_ci_u32_e32 v121, vcc_lo, s3, v134, vcc_lo
	v_mov_b32_e32 v112, v117
	v_or_b32_e32 v111, 0x1100, v116
	v_mov_b32_e32 v114, v117
	s_waitcnt vmcnt(26)
	global_store_b64 v[120:121], v[106:107], off
	v_lshlrev_b64 v[106:107], 3, v[124:125]
	v_lshlrev_b64 v[124:125], 3, v[126:127]
	;; [unrolled: 1-line block ×4, first 2 shown]
	v_or_b32_e32 v131, 0x1000, v116
	v_or_b32_e32 v113, 0x1200, v116
	v_add_co_u32 v106, vcc_lo, s2, v106
	v_add_co_ci_u32_e32 v107, vcc_lo, s3, v107, vcc_lo
	v_add_co_u32 v124, vcc_lo, s2, v124
	v_add_co_ci_u32_e32 v125, vcc_lo, s3, v125, vcc_lo
	;; [unrolled: 2-line block ×3, first 2 shown]
	global_store_b64 v[118:119], v[108:109], off
	s_waitcnt vmcnt(25)
	global_store_b64 v[106:107], v[48:49], off
	v_add_co_u32 v106, vcc_lo, s2, v129
	s_waitcnt vmcnt(24)
	global_store_b64 v[126:127], v[36:37], off
	v_add_co_ci_u32_e32 v107, vcc_lo, s3, v130, vcc_lo
	v_lshlrev_b64 v[126:127], 3, v[131:132]
	global_store_b64 v[122:123], v[104:105], off
	v_mov_b32_e32 v115, v117
	global_store_b64 v[106:107], v[38:39], off
	v_lshlrev_b64 v[106:107], 3, v[111:112]
	v_lshlrev_b64 v[111:112], 3, v[113:114]
	v_add_co_u32 v113, vcc_lo, s2, v126
	v_add_co_ci_u32_e32 v114, vcc_lo, s3, v127, vcc_lo
	s_delay_alu instid0(VALU_DEP_4)
	v_add_co_u32 v106, vcc_lo, s2, v106
	v_add_co_ci_u32_e32 v107, vcc_lo, s3, v107, vcc_lo
	global_store_b64 v[124:125], v[50:51], off
	s_waitcnt vmcnt(23)
	global_store_b64 v[113:114], v[24:25], off
	v_or_b32_e32 v114, 0x1300, v116
	global_store_b64 v[106:107], v[26:27], off
	v_mov_b32_e32 v135, v117
	v_or_b32_e32 v134, 0x1400, v116
	v_mov_b32_e32 v108, v117
	v_lshlrev_b64 v[113:114], 3, v[114:115]
	v_or_b32_e32 v107, 0x1500, v116
	v_add_co_u32 v111, vcc_lo, s2, v111
	v_lshlrev_b64 v[134:135], 3, v[134:135]
	v_mov_b32_e32 v110, v117
	v_mov_b32_e32 v133, v117
	v_or_b32_e32 v109, 0x1600, v116
	v_or_b32_e32 v132, 0x1800, v116
	v_add_co_ci_u32_e32 v112, vcc_lo, s3, v112, vcc_lo
	v_lshlrev_b64 v[106:107], 3, v[107:108]
	v_add_co_u32 v113, vcc_lo, s2, v113
	v_mov_b32_e32 v119, v117
	v_or_b32_e32 v118, 0x1700, v116
	v_add_co_ci_u32_e32 v114, vcc_lo, s3, v114, vcc_lo
	v_lshlrev_b64 v[108:109], 3, v[109:110]
	v_lshlrev_b64 v[131:132], 3, v[132:133]
	v_add_co_u32 v133, vcc_lo, s2, v134
	v_add_co_ci_u32_e32 v134, vcc_lo, s3, v135, vcc_lo
	v_lshlrev_b64 v[118:119], 3, v[118:119]
	v_add_co_u32 v106, vcc_lo, s2, v106
	v_mov_b32_e32 v105, v117
	v_or_b32_e32 v104, 0x1900, v116
	v_add_co_ci_u32_e32 v107, vcc_lo, s3, v107, vcc_lo
	v_add_co_u32 v108, vcc_lo, s2, v108
	v_mov_b32_e32 v121, v117
	v_mov_b32_e32 v128, v117
	v_mov_b32_e32 v130, v117
	v_or_b32_e32 v120, 0x1a00, v116
	v_or_b32_e32 v127, 0x1c00, v116
	;; [unrolled: 1-line block ×3, first 2 shown]
	v_add_co_ci_u32_e32 v109, vcc_lo, s3, v109, vcc_lo
	v_lshlrev_b64 v[104:105], 3, v[104:105]
	v_add_co_u32 v118, vcc_lo, s2, v118
	v_mov_b32_e32 v123, v117
	v_or_b32_e32 v122, 0x1b00, v116
	v_add_co_ci_u32_e32 v119, vcc_lo, s3, v119, vcc_lo
	v_lshlrev_b64 v[120:121], 3, v[120:121]
	v_lshlrev_b64 v[126:127], 3, v[127:128]
	;; [unrolled: 1-line block ×3, first 2 shown]
	v_add_co_u32 v130, vcc_lo, s2, v131
	v_add_co_ci_u32_e32 v131, vcc_lo, s3, v132, vcc_lo
	v_lshlrev_b64 v[122:123], 3, v[122:123]
	v_add_co_u32 v104, vcc_lo, s2, v104
	v_mov_b32_e32 v49, v117
	v_or_b32_e32 v48, 0x1d00, v116
	v_add_co_ci_u32_e32 v105, vcc_lo, s3, v105, vcc_lo
	v_add_co_u32 v120, vcc_lo, s2, v120
	v_mov_b32_e32 v51, v117
	v_or_b32_e32 v50, 0x1e00, v116
	v_add_co_ci_u32_e32 v121, vcc_lo, s3, v121, vcc_lo
	v_lshlrev_b64 v[48:49], 3, v[48:49]
	v_add_co_u32 v122, vcc_lo, s2, v122
	v_mov_b32_e32 v125, v117
	v_or_b32_e32 v124, 0x1f00, v116
	v_add_co_ci_u32_e32 v123, vcc_lo, s3, v123, vcc_lo
	v_lshlrev_b64 v[50:51], 3, v[50:51]
	v_add_co_u32 v126, vcc_lo, s2, v126
	v_add_co_ci_u32_e32 v127, vcc_lo, s3, v127, vcc_lo
	v_lshlrev_b64 v[124:125], 3, v[124:125]
	v_add_co_u32 v48, vcc_lo, s2, v48
	v_mov_b32_e32 v37, v117
	v_or_b32_e32 v36, 0x2100, v116
	v_add_co_ci_u32_e32 v49, vcc_lo, s3, v49, vcc_lo
	v_add_co_u32 v50, vcc_lo, s2, v50
	v_mov_b32_e32 v39, v117
	v_or_b32_e32 v38, 0x2200, v116
	v_add_co_ci_u32_e32 v51, vcc_lo, s3, v51, vcc_lo
	v_lshlrev_b64 v[36:37], 3, v[36:37]
	v_add_co_u32 v124, vcc_lo, s2, v124
	v_or_b32_e32 v136, 0x2300, v116
	v_add_co_ci_u32_e32 v125, vcc_lo, s3, v125, vcc_lo
	v_lshlrev_b64 v[38:39], 3, v[38:39]
	v_add_co_u32 v128, vcc_lo, s2, v128
	v_add_co_ci_u32_e32 v129, vcc_lo, s3, v129, vcc_lo
	v_lshlrev_b64 v[136:137], 3, v[136:137]
	v_add_co_u32 v36, vcc_lo, s2, v36
	v_mov_b32_e32 v25, v117
	v_or_b32_e32 v24, 0x2500, v116
	v_add_co_ci_u32_e32 v37, vcc_lo, s3, v37, vcc_lo
	v_lshlrev_b64 v[138:139], 3, v[138:139]
	v_add_co_u32 v38, vcc_lo, s2, v38
	v_mov_b32_e32 v27, v117
	v_or_b32_e32 v26, 0x2600, v116
	v_add_co_ci_u32_e32 v39, vcc_lo, s3, v39, vcc_lo
	v_lshlrev_b64 v[24:25], 3, v[24:25]
	v_add_co_u32 v135, vcc_lo, s2, v136
	v_add_co_ci_u32_e32 v136, vcc_lo, s3, v137, vcc_lo
	v_lshlrev_b64 v[26:27], 3, v[26:27]
	v_add_co_u32 v137, vcc_lo, s2, v138
	v_add_co_ci_u32_e32 v138, vcc_lo, s3, v139, vcc_lo
	v_add_co_u32 v24, vcc_lo, s2, v24
	v_add_co_ci_u32_e32 v25, vcc_lo, s3, v25, vcc_lo
	v_add_co_u32 v26, vcc_lo, s2, v26
	s_waitcnt vmcnt(22)
	s_clause 0x1
	global_store_b64 v[111:112], v[56:57], off
	global_store_b64 v[113:114], v[58:59], off
	s_waitcnt vmcnt(21)
	s_clause 0x1
	global_store_b64 v[133:134], v[64:65], off
	global_store_b64 v[106:107], v[66:67], off
	;; [unrolled: 4-line block ×9, first 2 shown]
	v_or_b32_e32 v36, 0x2800, v116
	v_mov_b32_e32 v37, v117
	v_add_co_ci_u32_e32 v27, vcc_lo, s3, v27, vcc_lo
	v_add_co_u32 v38, vcc_lo, s2, v140
	v_or_b32_e32 v48, 0x2900, v116
	v_mov_b32_e32 v49, v117
	v_add_co_ci_u32_e32 v39, vcc_lo, s3, v141, vcc_lo
	v_lshlrev_b64 v[36:37], 3, v[36:37]
	s_waitcnt vmcnt(12)
	s_clause 0x3
	global_store_b64 v[137:138], v[100:101], off
	global_store_b64 v[24:25], v[102:103], off
	;; [unrolled: 1-line block ×4, first 2 shown]
	v_or_b32_e32 v26, 0x2a00, v116
	v_mov_b32_e32 v27, v117
	v_lshlrev_b64 v[24:25], 3, v[48:49]
	v_or_b32_e32 v38, 0x2b00, v116
	v_mov_b32_e32 v39, v117
	v_add_co_u32 v36, vcc_lo, s2, v36
	v_lshlrev_b64 v[26:27], 3, v[26:27]
	v_add_co_ci_u32_e32 v37, vcc_lo, s3, v37, vcc_lo
	v_add_co_u32 v24, vcc_lo, s2, v24
	v_lshlrev_b64 v[38:39], 3, v[38:39]
	v_add_co_ci_u32_e32 v25, vcc_lo, s3, v25, vcc_lo
	v_add_co_u32 v26, vcc_lo, s2, v26
	v_or_b32_e32 v48, 0x2c00, v116
	v_add_co_ci_u32_e32 v27, vcc_lo, s3, v27, vcc_lo
	v_add_co_u32 v38, vcc_lo, s2, v38
	v_or_b32_e32 v50, 0x2d00, v116
	v_mov_b32_e32 v51, v117
	v_add_co_ci_u32_e32 v39, vcc_lo, s3, v39, vcc_lo
	v_lshlrev_b64 v[48:49], 3, v[48:49]
	s_waitcnt vmcnt(8)
	s_clause 0x3
	global_store_b64 v[36:37], v[60:61], off
	global_store_b64 v[24:25], v[62:63], off
	;; [unrolled: 1-line block ×4, first 2 shown]
	v_or_b32_e32 v26, 0x2e00, v116
	v_mov_b32_e32 v27, v117
	v_lshlrev_b64 v[24:25], 3, v[50:51]
	v_or_b32_e32 v38, 0x2f00, v116
	v_mov_b32_e32 v39, v117
	v_add_co_u32 v36, vcc_lo, s2, v48
	v_lshlrev_b64 v[26:27], 3, v[26:27]
	v_add_co_ci_u32_e32 v37, vcc_lo, s3, v49, vcc_lo
	v_add_co_u32 v24, vcc_lo, s2, v24
	v_lshlrev_b64 v[38:39], 3, v[38:39]
	v_add_co_ci_u32_e32 v25, vcc_lo, s3, v25, vcc_lo
	v_add_co_u32 v26, vcc_lo, s2, v26
	v_or_b32_e32 v48, 0x3000, v116
	v_mov_b32_e32 v49, v117
	v_add_co_ci_u32_e32 v27, vcc_lo, s3, v27, vcc_lo
	v_add_co_u32 v38, vcc_lo, s2, v38
	v_or_b32_e32 v50, 0x3100, v116
	v_add_co_ci_u32_e32 v39, vcc_lo, s3, v39, vcc_lo
	v_lshlrev_b64 v[48:49], 3, v[48:49]
	s_clause 0x3
	global_store_b64 v[36:37], v[44:45], off
	global_store_b64 v[24:25], v[46:47], off
	;; [unrolled: 1-line block ×4, first 2 shown]
	v_or_b32_e32 v26, 0x3200, v116
	v_mov_b32_e32 v27, v117
	v_lshlrev_b64 v[24:25], 3, v[50:51]
	v_or_b32_e32 v38, 0x3300, v116
	v_mov_b32_e32 v39, v117
	v_add_co_u32 v36, vcc_lo, s2, v48
	v_lshlrev_b64 v[26:27], 3, v[26:27]
	v_add_co_ci_u32_e32 v37, vcc_lo, s3, v49, vcc_lo
	v_add_co_u32 v24, vcc_lo, s2, v24
	v_lshlrev_b64 v[38:39], 3, v[38:39]
	v_add_co_ci_u32_e32 v25, vcc_lo, s3, v25, vcc_lo
	v_add_co_u32 v26, vcc_lo, s2, v26
	v_or_b32_e32 v40, 0x3400, v116
	v_mov_b32_e32 v41, v117
	v_add_co_ci_u32_e32 v27, vcc_lo, s3, v27, vcc_lo
	v_add_co_u32 v38, vcc_lo, s2, v38
	v_or_b32_e32 v42, 0x3500, v116
	v_mov_b32_e32 v43, v117
	v_add_co_ci_u32_e32 v39, vcc_lo, s3, v39, vcc_lo
	v_lshlrev_b64 v[40:41], 3, v[40:41]
	s_waitcnt vmcnt(4)
	s_clause 0x3
	global_store_b64 v[36:37], v[32:33], off
	global_store_b64 v[24:25], v[34:35], off
	;; [unrolled: 1-line block ×4, first 2 shown]
	v_or_b32_e32 v26, 0x3600, v116
	v_mov_b32_e32 v27, v117
	v_lshlrev_b64 v[24:25], 3, v[42:43]
	v_or_b32_e32 v30, 0x3700, v116
	v_mov_b32_e32 v31, v117
	v_add_co_u32 v28, vcc_lo, s2, v40
	v_lshlrev_b64 v[26:27], 3, v[26:27]
	v_add_co_ci_u32_e32 v29, vcc_lo, s3, v41, vcc_lo
	v_add_co_u32 v24, vcc_lo, s2, v24
	v_lshlrev_b64 v[30:31], 3, v[30:31]
	v_add_co_ci_u32_e32 v25, vcc_lo, s3, v25, vcc_lo
	v_add_co_u32 v26, vcc_lo, s2, v26
	v_or_b32_e32 v32, 0x3800, v116
	v_mov_b32_e32 v33, v117
	v_add_co_ci_u32_e32 v27, vcc_lo, s3, v27, vcc_lo
	v_add_co_u32 v30, vcc_lo, s2, v30
	v_or_b32_e32 v34, 0x3900, v116
	v_mov_b32_e32 v35, v117
	v_add_co_ci_u32_e32 v31, vcc_lo, s3, v31, vcc_lo
	v_lshlrev_b64 v[32:33], 3, v[32:33]
	s_clause 0x3
	global_store_b64 v[28:29], v[20:21], off
	global_store_b64 v[24:25], v[22:23], off
	;; [unrolled: 1-line block ×4, first 2 shown]
	v_or_b32_e32 v18, 0x3a00, v116
	v_mov_b32_e32 v19, v117
	v_lshlrev_b64 v[16:17], 3, v[34:35]
	v_or_b32_e32 v22, 0x3b00, v116
	v_mov_b32_e32 v23, v117
	v_add_co_u32 v20, vcc_lo, s2, v32
	v_lshlrev_b64 v[18:19], 3, v[18:19]
	v_or_b32_e32 v24, 0x3c00, v116
	v_mov_b32_e32 v25, v117
	v_add_co_ci_u32_e32 v21, vcc_lo, s3, v33, vcc_lo
	v_add_co_u32 v16, vcc_lo, s2, v16
	v_lshlrev_b64 v[22:23], 3, v[22:23]
	v_or_b32_e32 v26, 0x3d00, v116
	v_mov_b32_e32 v27, v117
	v_add_co_ci_u32_e32 v17, vcc_lo, s3, v17, vcc_lo
	;; [unrolled: 5-line block ×3, first 2 shown]
	v_add_co_u32 v22, vcc_lo, s2, v22
	v_lshlrev_b64 v[26:27], 3, v[26:27]
	v_or_b32_e32 v116, 0x3f00, v116
	v_add_co_ci_u32_e32 v23, vcc_lo, s3, v23, vcc_lo
	v_add_co_u32 v24, vcc_lo, s2, v24
	v_lshlrev_b64 v[28:29], 3, v[28:29]
	v_add_co_ci_u32_e32 v25, vcc_lo, s3, v25, vcc_lo
	v_add_co_u32 v26, vcc_lo, s2, v26
	v_lshlrev_b64 v[30:31], 3, v[116:117]
	v_add_co_ci_u32_e32 v27, vcc_lo, s3, v27, vcc_lo
	v_add_co_u32 v28, vcc_lo, s2, v28
	v_add_co_ci_u32_e32 v29, vcc_lo, s3, v29, vcc_lo
	s_delay_alu instid0(VALU_DEP_4)
	v_add_co_u32 v30, vcc_lo, s2, v30
	v_add_co_ci_u32_e32 v31, vcc_lo, s3, v31, vcc_lo
	s_waitcnt vmcnt(0)
	s_clause 0x7
	global_store_b64 v[20:21], v[12:13], off
	global_store_b64 v[16:17], v[14:15], off
	;; [unrolled: 1-line block ×8, first 2 shown]
	s_nop 0
	s_sendmsg sendmsg(MSG_DEALLOC_VGPRS)
	s_endpgm
	.section	.rodata,"a",@progbits
	.p2align	6, 0x0
	.amdhsa_kernel _Z16warp_load_kernelILj256ELj64ELj32ELN6hipcub17WarpLoadAlgorithmE0EdEvPT3_S3_
		.amdhsa_group_segment_fixed_size 0
		.amdhsa_private_segment_fixed_size 0
		.amdhsa_kernarg_size 16
		.amdhsa_user_sgpr_count 15
		.amdhsa_user_sgpr_dispatch_ptr 0
		.amdhsa_user_sgpr_queue_ptr 0
		.amdhsa_user_sgpr_kernarg_segment_ptr 1
		.amdhsa_user_sgpr_dispatch_id 0
		.amdhsa_user_sgpr_private_segment_size 0
		.amdhsa_wavefront_size32 1
		.amdhsa_uses_dynamic_stack 0
		.amdhsa_enable_private_segment 0
		.amdhsa_system_sgpr_workgroup_id_x 1
		.amdhsa_system_sgpr_workgroup_id_y 0
		.amdhsa_system_sgpr_workgroup_id_z 0
		.amdhsa_system_sgpr_workgroup_info 0
		.amdhsa_system_vgpr_workitem_id 0
		.amdhsa_next_free_vgpr 142
		.amdhsa_next_free_sgpr 16
		.amdhsa_reserve_vcc 1
		.amdhsa_float_round_mode_32 0
		.amdhsa_float_round_mode_16_64 0
		.amdhsa_float_denorm_mode_32 3
		.amdhsa_float_denorm_mode_16_64 3
		.amdhsa_dx10_clamp 1
		.amdhsa_ieee_mode 1
		.amdhsa_fp16_overflow 0
		.amdhsa_workgroup_processor_mode 1
		.amdhsa_memory_ordered 1
		.amdhsa_forward_progress 0
		.amdhsa_shared_vgpr_count 0
		.amdhsa_exception_fp_ieee_invalid_op 0
		.amdhsa_exception_fp_denorm_src 0
		.amdhsa_exception_fp_ieee_div_zero 0
		.amdhsa_exception_fp_ieee_overflow 0
		.amdhsa_exception_fp_ieee_underflow 0
		.amdhsa_exception_fp_ieee_inexact 0
		.amdhsa_exception_int_div_zero 0
	.end_amdhsa_kernel
	.section	.text._Z16warp_load_kernelILj256ELj64ELj32ELN6hipcub17WarpLoadAlgorithmE0EdEvPT3_S3_,"axG",@progbits,_Z16warp_load_kernelILj256ELj64ELj32ELN6hipcub17WarpLoadAlgorithmE0EdEvPT3_S3_,comdat
.Lfunc_end34:
	.size	_Z16warp_load_kernelILj256ELj64ELj32ELN6hipcub17WarpLoadAlgorithmE0EdEvPT3_S3_, .Lfunc_end34-_Z16warp_load_kernelILj256ELj64ELj32ELN6hipcub17WarpLoadAlgorithmE0EdEvPT3_S3_
                                        ; -- End function
	.section	.AMDGPU.csdata,"",@progbits
; Kernel info:
; codeLenInByte = 3052
; NumSgprs: 18
; NumVgprs: 142
; ScratchSize: 0
; MemoryBound: 1
; FloatMode: 240
; IeeeMode: 1
; LDSByteSize: 0 bytes/workgroup (compile time only)
; SGPRBlocks: 2
; VGPRBlocks: 17
; NumSGPRsForWavesPerEU: 18
; NumVGPRsForWavesPerEU: 142
; Occupancy: 10
; WaveLimiterHint : 1
; COMPUTE_PGM_RSRC2:SCRATCH_EN: 0
; COMPUTE_PGM_RSRC2:USER_SGPR: 15
; COMPUTE_PGM_RSRC2:TRAP_HANDLER: 0
; COMPUTE_PGM_RSRC2:TGID_X_EN: 1
; COMPUTE_PGM_RSRC2:TGID_Y_EN: 0
; COMPUTE_PGM_RSRC2:TGID_Z_EN: 0
; COMPUTE_PGM_RSRC2:TIDIG_COMP_CNT: 0
	.section	.text._Z16warp_load_kernelILj256ELj64ELj32ELN6hipcub17WarpLoadAlgorithmE1EdEvPT3_S3_,"axG",@progbits,_Z16warp_load_kernelILj256ELj64ELj32ELN6hipcub17WarpLoadAlgorithmE1EdEvPT3_S3_,comdat
	.protected	_Z16warp_load_kernelILj256ELj64ELj32ELN6hipcub17WarpLoadAlgorithmE1EdEvPT3_S3_ ; -- Begin function _Z16warp_load_kernelILj256ELj64ELj32ELN6hipcub17WarpLoadAlgorithmE1EdEvPT3_S3_
	.globl	_Z16warp_load_kernelILj256ELj64ELj32ELN6hipcub17WarpLoadAlgorithmE1EdEvPT3_S3_
	.p2align	8
	.type	_Z16warp_load_kernelILj256ELj64ELj32ELN6hipcub17WarpLoadAlgorithmE1EdEvPT3_S3_,@function
_Z16warp_load_kernelILj256ELj64ELj32ELN6hipcub17WarpLoadAlgorithmE1EdEvPT3_S3_: ; @_Z16warp_load_kernelILj256ELj64ELj32ELN6hipcub17WarpLoadAlgorithmE1EdEvPT3_S3_
; %bb.0:
	s_load_b128 s[0:3], s[0:1], 0x0
	v_dual_mov_b32 v2, 0 :: v_dual_lshlrev_b32 v1, 6, v0
	s_lshl_b32 s4, s15, 14
	v_mbcnt_lo_u32_b32 v5, -1, 0
	s_delay_alu instid0(VALU_DEP_2) | instskip(NEXT) | instid1(VALU_DEP_3)
	v_and_or_b32 v1, 0x3800, v1, s4
	v_mov_b32_e32 v10, v2
	v_mov_b32_e32 v132, v2
	;; [unrolled: 1-line block ×4, first 2 shown]
	v_lshlrev_b64 v[3:4], 3, v[1:2]
	v_lshlrev_b32_e32 v1, 3, v5
	s_waitcnt lgkmcnt(0)
	s_delay_alu instid0(VALU_DEP_2) | instskip(NEXT) | instid1(VALU_DEP_3)
	v_add_co_u32 v3, vcc_lo, s0, v3
	v_add_co_ci_u32_e32 v4, vcc_lo, s1, v4, vcc_lo
	s_delay_alu instid0(VALU_DEP_2) | instskip(NEXT) | instid1(VALU_DEP_2)
	v_add_co_u32 v3, vcc_lo, v3, v1
	v_add_co_ci_u32_e32 v4, vcc_lo, 0, v4, vcc_lo
	v_or_b32_e32 v1, s4, v0
	s_delay_alu instid0(VALU_DEP_3)
	v_add_co_u32 v5, vcc_lo, v3, 0x2000
	s_clause 0xe
	global_load_b64 v[113:114], v[3:4], off
	global_load_b64 v[115:116], v[3:4], off offset:256
	global_load_b64 v[117:118], v[3:4], off offset:512
	;; [unrolled: 1-line block ×14, first 2 shown]
	v_add_co_ci_u32_e32 v6, vcc_lo, 0, v4, vcc_lo
	v_add_co_u32 v7, vcc_lo, 0x1000, v3
	v_add_co_ci_u32_e32 v8, vcc_lo, 0, v4, vcc_lo
	s_clause 0x10
	global_load_b64 v[59:60], v[3:4], off offset:3840
	global_load_b64 v[61:62], v[5:6], off offset:-4096
	global_load_b64 v[63:64], v[7:8], off offset:256
	global_load_b64 v[65:66], v[7:8], off offset:512
	global_load_b64 v[67:68], v[7:8], off offset:768
	global_load_b64 v[69:70], v[7:8], off offset:1024
	global_load_b64 v[71:72], v[7:8], off offset:1280
	global_load_b64 v[73:74], v[7:8], off offset:1536
	global_load_b64 v[75:76], v[7:8], off offset:1792
	global_load_b64 v[77:78], v[7:8], off offset:2048
	global_load_b64 v[79:80], v[7:8], off offset:2304
	global_load_b64 v[81:82], v[7:8], off offset:2560
	global_load_b64 v[83:84], v[7:8], off offset:2816
	global_load_b64 v[85:86], v[7:8], off offset:3072
	global_load_b64 v[87:88], v[7:8], off offset:3328
	global_load_b64 v[89:90], v[7:8], off offset:3584
	global_load_b64 v[91:92], v[7:8], off offset:3840
	v_add_co_u32 v7, vcc_lo, 0x2000, v3
	v_add_co_ci_u32_e32 v8, vcc_lo, 0, v4, vcc_lo
	s_clause 0x3
	global_load_b64 v[51:52], v[5:6], off
	global_load_b64 v[53:54], v[7:8], off offset:256
	global_load_b64 v[55:56], v[7:8], off offset:512
	;; [unrolled: 1-line block ×3, first 2 shown]
	v_mov_b32_e32 v6, v2
	v_or_b32_e32 v5, 0x200, v1
	v_lshlrev_b64 v[11:12], 3, v[1:2]
	v_or_b32_e32 v9, 0x300, v1
	v_or_b32_e32 v131, 0x400, v1
	;; [unrolled: 1-line block ×3, first 2 shown]
	v_lshlrev_b64 v[5:6], 3, v[5:6]
	v_or_b32_e32 v143, 0x2200, v1
	v_add_co_u32 v137, vcc_lo, s2, v11
	v_add_co_ci_u32_e32 v138, vcc_lo, s3, v12, vcc_lo
	s_delay_alu instid0(VALU_DEP_4)
	v_add_co_u32 v139, vcc_lo, s2, v5
	v_add_co_ci_u32_e32 v140, vcc_lo, s3, v6, vcc_lo
	v_add_co_u32 v3, vcc_lo, 0x3000, v3
	v_add_co_ci_u32_e32 v4, vcc_lo, 0, v4, vcc_lo
	v_lshlrev_b64 v[135:136], 3, v[9:10]
	s_clause 0x1b
	global_load_b64 v[93:94], v[7:8], off offset:1024
	global_load_b64 v[95:96], v[7:8], off offset:1280
	;; [unrolled: 1-line block ×12, first 2 shown]
	global_load_b64 v[27:28], v[3:4], off
	global_load_b64 v[29:30], v[3:4], off offset:256
	global_load_b64 v[31:32], v[3:4], off offset:512
	global_load_b64 v[33:34], v[3:4], off offset:768
	global_load_b64 v[19:20], v[3:4], off offset:1024
	global_load_b64 v[21:22], v[3:4], off offset:1280
	global_load_b64 v[23:24], v[3:4], off offset:1536
	global_load_b64 v[25:26], v[3:4], off offset:1792
	global_load_b64 v[5:6], v[3:4], off offset:2048
	global_load_b64 v[7:8], v[3:4], off offset:2304
	global_load_b64 v[9:10], v[3:4], off offset:2560
	global_load_b64 v[11:12], v[3:4], off offset:2816
	global_load_b64 v[13:14], v[3:4], off offset:3072
	global_load_b64 v[15:16], v[3:4], off offset:3328
	global_load_b64 v[17:18], v[3:4], off offset:3584
	global_load_b64 v[3:4], v[3:4], off offset:3840
	v_lshlrev_b64 v[131:132], 3, v[131:132]
	v_lshlrev_b64 v[133:134], 3, v[133:134]
	;; [unrolled: 1-line block ×3, first 2 shown]
	v_add_co_u32 v135, vcc_lo, s2, v135
	v_add_co_ci_u32_e32 v136, vcc_lo, s3, v136, vcc_lo
	v_add_co_u32 v131, vcc_lo, s2, v131
	v_add_co_ci_u32_e32 v132, vcc_lo, s3, v132, vcc_lo
	;; [unrolled: 2-line block ×3, first 2 shown]
	s_waitcnt vmcnt(62)
	global_store_b64 v[137:138], v[115:116], off offset:2048
	s_waitcnt vmcnt(61)
	global_store_b64 v[139:140], v[117:118], off
	v_mov_b32_e32 v116, v2
	s_waitcnt vmcnt(59)
	global_store_b64 v[131:132], v[121:122], off
	s_waitcnt vmcnt(58)
	s_clause 0x2
	global_store_b64 v[133:134], v[123:124], off
	global_store_b64 v[137:138], v[113:114], off
	;; [unrolled: 1-line block ×3, first 2 shown]
	v_mov_b32_e32 v114, v2
	v_or_b32_e32 v113, 0x600, v1
	v_or_b32_e32 v115, 0x700, v1
	v_mov_b32_e32 v137, v2
	v_or_b32_e32 v136, 0x800, v1
	v_mov_b32_e32 v117, v2
	v_lshlrev_b64 v[113:114], 3, v[113:114]
	v_lshlrev_b64 v[115:116], 3, v[115:116]
	v_mov_b32_e32 v139, v2
	v_lshlrev_b64 v[134:135], 3, v[136:137]
	v_or_b32_e32 v138, 0xa00, v1
	v_mov_b32_e32 v119, v2
	v_add_co_u32 v113, vcc_lo, s2, v113
	v_add_co_ci_u32_e32 v114, vcc_lo, s3, v114, vcc_lo
	v_add_co_u32 v132, vcc_lo, s2, v115
	v_add_co_ci_u32_e32 v133, vcc_lo, s3, v116, vcc_lo
	v_or_b32_e32 v116, 0x900, v1
	v_add_co_u32 v134, vcc_lo, s2, v134
	v_add_co_ci_u32_e32 v135, vcc_lo, s3, v135, vcc_lo
	s_delay_alu instid0(VALU_DEP_3)
	v_lshlrev_b64 v[116:117], 3, v[116:117]
	v_or_b32_e32 v118, 0xb00, v1
	v_mov_b32_e32 v120, v2
	v_mov_b32_e32 v122, v2
	v_or_b32_e32 v121, 0xd00, v1
	v_mov_b32_e32 v131, v2
	v_add_co_u32 v116, vcc_lo, s2, v116
	v_add_co_ci_u32_e32 v117, vcc_lo, s3, v117, vcc_lo
	s_waitcnt vmcnt(57)
	global_store_b64 v[113:114], v[125:126], off
	s_waitcnt vmcnt(56)
	global_store_b64 v[132:133], v[127:128], off
	;; [unrolled: 2-line block ×3, first 2 shown]
	v_lshlrev_b64 v[132:133], 3, v[138:139]
	v_lshlrev_b64 v[118:119], 3, v[118:119]
	s_waitcnt vmcnt(54)
	global_store_b64 v[116:117], v[111:112], off
	v_or_b32_e32 v130, 0xe00, v1
	v_mov_b32_e32 v124, v2
	v_or_b32_e32 v123, 0xf00, v1
	v_add_co_u32 v132, vcc_lo, s2, v132
	v_add_co_ci_u32_e32 v133, vcc_lo, s3, v133, vcc_lo
	v_add_co_u32 v116, vcc_lo, s2, v118
	v_add_co_ci_u32_e32 v117, vcc_lo, s3, v119, vcc_lo
	v_or_b32_e32 v119, 0xc00, v1
	v_mov_b32_e32 v115, v2
	v_or_b32_e32 v114, 0x1000, v1
	v_mov_b32_e32 v113, v2
	v_or_b32_e32 v112, 0x1100, v1
	v_lshlrev_b64 v[119:120], 3, v[119:120]
	v_mov_b32_e32 v125, v2
	v_lshlrev_b64 v[114:115], 3, v[114:115]
	v_mov_b32_e32 v127, v2
	v_lshlrev_b64 v[112:113], 3, v[112:113]
	v_or_b32_e32 v126, 0x1300, v1
	v_add_co_u32 v119, vcc_lo, s2, v119
	v_add_co_ci_u32_e32 v120, vcc_lo, s3, v120, vcc_lo
	s_waitcnt vmcnt(52)
	global_store_b64 v[116:117], v[105:106], off
	v_lshlrev_b64 v[116:117], 3, v[121:122]
	v_lshlrev_b64 v[121:122], 3, v[130:131]
	s_waitcnt vmcnt(51)
	s_clause 0x1
	global_store_b64 v[119:120], v[101:102], off
	global_store_b64 v[132:133], v[109:110], off
	v_lshlrev_b64 v[119:120], 3, v[123:124]
	v_or_b32_e32 v124, 0x1200, v1
	v_add_co_u32 v116, vcc_lo, s2, v116
	v_add_co_ci_u32_e32 v117, vcc_lo, s3, v117, vcc_lo
	v_add_co_u32 v121, vcc_lo, s2, v121
	v_add_co_ci_u32_e32 v122, vcc_lo, s3, v122, vcc_lo
	;; [unrolled: 2-line block ×3, first 2 shown]
	v_lshlrev_b64 v[124:125], 3, v[124:125]
	v_add_co_u32 v114, vcc_lo, s2, v114
	v_mov_b32_e32 v136, v2
	v_mov_b32_e32 v123, v2
	s_waitcnt vmcnt(50)
	global_store_b64 v[116:117], v[107:108], off
	s_waitcnt vmcnt(49)
	global_store_b64 v[121:122], v[103:104], off
	v_or_b32_e32 v135, 0x1400, v1
	v_or_b32_e32 v122, 0x1e00, v1
	v_add_co_ci_u32_e32 v115, vcc_lo, s3, v115, vcc_lo
	v_lshlrev_b64 v[126:127], 3, v[126:127]
	v_add_co_u32 v112, vcc_lo, s2, v112
	v_mov_b32_e32 v129, v2
	v_or_b32_e32 v128, 0x1500, v1
	v_add_co_ci_u32_e32 v113, vcc_lo, s3, v113, vcc_lo
	v_lshlrev_b64 v[135:136], 3, v[135:136]
	v_lshlrev_b64 v[121:122], 3, v[122:123]
	v_add_co_u32 v123, vcc_lo, s2, v124
	v_mov_b32_e32 v134, v2
	v_or_b32_e32 v133, 0x1600, v1
	v_add_co_ci_u32_e32 v124, vcc_lo, s3, v125, vcc_lo
	v_lshlrev_b64 v[128:129], 3, v[128:129]
	v_add_co_u32 v125, vcc_lo, s2, v126
	v_mov_b32_e32 v111, v2
	v_or_b32_e32 v110, 0x1700, v1
	v_add_co_ci_u32_e32 v126, vcc_lo, s3, v127, vcc_lo
	v_lshlrev_b64 v[133:134], 3, v[133:134]
	v_add_co_u32 v135, vcc_lo, s2, v135
	v_mov_b32_e32 v118, v2
	v_mov_b32_e32 v132, v2
	v_or_b32_e32 v117, 0x1800, v1
	v_or_b32_e32 v131, 0x1a00, v1
	v_add_co_ci_u32_e32 v136, vcc_lo, s3, v136, vcc_lo
	v_lshlrev_b64 v[110:111], 3, v[110:111]
	v_add_co_u32 v127, vcc_lo, s2, v128
	v_mov_b32_e32 v109, v2
	v_or_b32_e32 v108, 0x1900, v1
	v_add_co_ci_u32_e32 v128, vcc_lo, s3, v129, vcc_lo
	v_lshlrev_b64 v[116:117], 3, v[117:118]
	v_lshlrev_b64 v[130:131], 3, v[131:132]
	v_add_co_u32 v132, vcc_lo, s2, v133
	v_add_co_ci_u32_e32 v133, vcc_lo, s3, v134, vcc_lo
	v_lshlrev_b64 v[108:109], 3, v[108:109]
	v_add_co_u32 v110, vcc_lo, s2, v110
	v_mov_b32_e32 v105, v2
	v_or_b32_e32 v104, 0x1b00, v1
	v_add_co_ci_u32_e32 v111, vcc_lo, s3, v111, vcc_lo
	v_add_co_u32 v116, vcc_lo, s2, v116
	v_mov_b32_e32 v138, v2
	v_or_b32_e32 v137, 0x1c00, v1
	v_add_co_ci_u32_e32 v117, vcc_lo, s3, v117, vcc_lo
	v_lshlrev_b64 v[104:105], 3, v[104:105]
	v_add_co_u32 v108, vcc_lo, s2, v108
	v_mov_b32_e32 v102, v2
	v_or_b32_e32 v101, 0x1d00, v1
	v_add_co_ci_u32_e32 v109, vcc_lo, s3, v109, vcc_lo
	v_lshlrev_b64 v[137:138], 3, v[137:138]
	v_add_co_u32 v129, vcc_lo, s2, v130
	v_add_co_ci_u32_e32 v130, vcc_lo, s3, v131, vcc_lo
	v_lshlrev_b64 v[101:102], 3, v[101:102]
	v_add_co_u32 v104, vcc_lo, s2, v104
	v_mov_b32_e32 v107, v2
	v_or_b32_e32 v106, 0x1f00, v1
	v_add_co_ci_u32_e32 v105, vcc_lo, s3, v105, vcc_lo
	v_add_co_u32 v137, vcc_lo, s2, v137
	v_mov_b32_e32 v140, v2
	v_or_b32_e32 v139, 0x2000, v1
	v_add_co_ci_u32_e32 v138, vcc_lo, s3, v138, vcc_lo
	v_lshlrev_b64 v[106:107], 3, v[106:107]
	v_add_co_u32 v141, vcc_lo, s2, v101
	v_mov_b32_e32 v103, v2
	v_add_co_ci_u32_e32 v142, vcc_lo, s3, v102, vcc_lo
	v_or_b32_e32 v102, 0x2100, v1
	v_add_co_u32 v121, vcc_lo, s2, v121
	v_lshlrev_b64 v[139:140], 3, v[139:140]
	v_add_co_ci_u32_e32 v122, vcc_lo, s3, v122, vcc_lo
	v_add_co_u32 v106, vcc_lo, s2, v106
	v_lshlrev_b64 v[101:102], 3, v[102:103]
	v_add_co_ci_u32_e32 v107, vcc_lo, s3, v107, vcc_lo
	s_waitcnt vmcnt(48)
	global_store_b64 v[119:120], v[59:60], off
	s_waitcnt vmcnt(47)
	global_store_b64 v[114:115], v[61:62], off
	;; [unrolled: 2-line block ×17, first 2 shown]
	v_or_b32_e32 v59, 0x2300, v1
	v_mov_b32_e32 v60, v2
	v_add_co_u32 v139, vcc_lo, s2, v139
	v_add_co_ci_u32_e32 v140, vcc_lo, s3, v140, vcc_lo
	v_add_co_u32 v61, vcc_lo, s2, v101
	s_delay_alu instid0(VALU_DEP_4)
	v_lshlrev_b64 v[59:60], 3, v[59:60]
	v_add_co_ci_u32_e32 v62, vcc_lo, s3, v102, vcc_lo
	v_add_co_u32 v63, vcc_lo, s2, v143
	v_or_b32_e32 v65, 0x2400, v1
	v_mov_b32_e32 v66, v2
	v_add_co_ci_u32_e32 v64, vcc_lo, s3, v144, vcc_lo
	v_add_co_u32 v59, vcc_lo, s2, v59
	v_or_b32_e32 v67, 0x2500, v1
	v_mov_b32_e32 v68, v2
	v_add_co_ci_u32_e32 v60, vcc_lo, s3, v60, vcc_lo
	v_lshlrev_b64 v[65:66], 3, v[65:66]
	s_waitcnt vmcnt(31)
	global_store_b64 v[139:140], v[51:52], off
	s_waitcnt vmcnt(30)
	global_store_b64 v[61:62], v[53:54], off
	;; [unrolled: 2-line block ×4, first 2 shown]
	v_or_b32_e32 v53, 0x2600, v1
	v_mov_b32_e32 v54, v2
	v_lshlrev_b64 v[51:52], 3, v[67:68]
	v_or_b32_e32 v57, 0x2700, v1
	v_mov_b32_e32 v58, v2
	v_add_co_u32 v55, vcc_lo, s2, v65
	v_lshlrev_b64 v[53:54], 3, v[53:54]
	v_add_co_ci_u32_e32 v56, vcc_lo, s3, v66, vcc_lo
	v_add_co_u32 v51, vcc_lo, s2, v51
	v_lshlrev_b64 v[57:58], 3, v[57:58]
	v_add_co_ci_u32_e32 v52, vcc_lo, s3, v52, vcc_lo
	v_add_co_u32 v53, vcc_lo, s2, v53
	v_or_b32_e32 v59, 0x2800, v1
	v_mov_b32_e32 v60, v2
	v_add_co_ci_u32_e32 v54, vcc_lo, s3, v54, vcc_lo
	v_add_co_u32 v57, vcc_lo, s2, v57
	v_or_b32_e32 v61, 0x2900, v1
	v_mov_b32_e32 v62, v2
	v_add_co_ci_u32_e32 v58, vcc_lo, s3, v58, vcc_lo
	v_lshlrev_b64 v[59:60], 3, v[59:60]
	s_waitcnt vmcnt(27)
	global_store_b64 v[55:56], v[93:94], off
	s_waitcnt vmcnt(26)
	global_store_b64 v[51:52], v[95:96], off
	;; [unrolled: 2-line block ×4, first 2 shown]
	v_or_b32_e32 v53, 0x2a00, v1
	v_mov_b32_e32 v54, v2
	v_lshlrev_b64 v[51:52], 3, v[61:62]
	v_or_b32_e32 v57, 0x2b00, v1
	v_mov_b32_e32 v58, v2
	v_add_co_u32 v55, vcc_lo, s2, v59
	v_lshlrev_b64 v[53:54], 3, v[53:54]
	v_add_co_ci_u32_e32 v56, vcc_lo, s3, v60, vcc_lo
	v_add_co_u32 v51, vcc_lo, s2, v51
	v_lshlrev_b64 v[57:58], 3, v[57:58]
	v_add_co_ci_u32_e32 v52, vcc_lo, s3, v52, vcc_lo
	v_add_co_u32 v53, vcc_lo, s2, v53
	v_or_b32_e32 v59, 0x2c00, v1
	v_mov_b32_e32 v60, v2
	v_add_co_ci_u32_e32 v54, vcc_lo, s3, v54, vcc_lo
	v_add_co_u32 v57, vcc_lo, s2, v57
	v_or_b32_e32 v61, 0x2d00, v1
	v_add_co_ci_u32_e32 v58, vcc_lo, s3, v58, vcc_lo
	v_lshlrev_b64 v[59:60], 3, v[59:60]
	s_waitcnt vmcnt(23)
	global_store_b64 v[55:56], v[43:44], off
	s_waitcnt vmcnt(22)
	global_store_b64 v[51:52], v[45:46], off
	s_waitcnt vmcnt(21)
	global_store_b64 v[53:54], v[47:48], off
	s_waitcnt vmcnt(20)
	global_store_b64 v[57:58], v[49:50], off
	v_or_b32_e32 v45, 0x2e00, v1
	v_mov_b32_e32 v46, v2
	v_lshlrev_b64 v[43:44], 3, v[61:62]
	v_or_b32_e32 v49, 0x2f00, v1
	v_mov_b32_e32 v50, v2
	v_add_co_u32 v47, vcc_lo, s2, v59
	v_lshlrev_b64 v[45:46], 3, v[45:46]
	v_add_co_ci_u32_e32 v48, vcc_lo, s3, v60, vcc_lo
	v_add_co_u32 v43, vcc_lo, s2, v43
	v_lshlrev_b64 v[49:50], 3, v[49:50]
	v_add_co_ci_u32_e32 v44, vcc_lo, s3, v44, vcc_lo
	v_add_co_u32 v45, vcc_lo, s2, v45
	v_or_b32_e32 v51, 0x3000, v1
	v_mov_b32_e32 v52, v2
	v_add_co_ci_u32_e32 v46, vcc_lo, s3, v46, vcc_lo
	v_add_co_u32 v49, vcc_lo, s2, v49
	v_or_b32_e32 v53, 0x3100, v1
	v_mov_b32_e32 v54, v2
	v_add_co_ci_u32_e32 v50, vcc_lo, s3, v50, vcc_lo
	v_lshlrev_b64 v[51:52], 3, v[51:52]
	s_waitcnt vmcnt(19)
	global_store_b64 v[47:48], v[35:36], off
	s_waitcnt vmcnt(18)
	global_store_b64 v[43:44], v[37:38], off
	s_waitcnt vmcnt(17)
	global_store_b64 v[45:46], v[39:40], off
	s_waitcnt vmcnt(16)
	global_store_b64 v[49:50], v[41:42], off
	v_or_b32_e32 v37, 0x3200, v1
	v_mov_b32_e32 v38, v2
	v_lshlrev_b64 v[35:36], 3, v[53:54]
	v_or_b32_e32 v41, 0x3300, v1
	v_mov_b32_e32 v42, v2
	v_add_co_u32 v39, vcc_lo, s2, v51
	v_lshlrev_b64 v[37:38], 3, v[37:38]
	v_add_co_ci_u32_e32 v40, vcc_lo, s3, v52, vcc_lo
	v_add_co_u32 v35, vcc_lo, s2, v35
	v_lshlrev_b64 v[41:42], 3, v[41:42]
	v_add_co_ci_u32_e32 v36, vcc_lo, s3, v36, vcc_lo
	v_add_co_u32 v37, vcc_lo, s2, v37
	v_or_b32_e32 v43, 0x3400, v1
	v_mov_b32_e32 v44, v2
	v_add_co_ci_u32_e32 v38, vcc_lo, s3, v38, vcc_lo
	v_add_co_u32 v41, vcc_lo, s2, v41
	v_or_b32_e32 v45, 0x3500, v1
	v_mov_b32_e32 v46, v2
	;; [unrolled: 28-line block ×3, first 2 shown]
	v_add_co_ci_u32_e32 v34, vcc_lo, s3, v34, vcc_lo
	v_lshlrev_b64 v[35:36], 3, v[35:36]
	s_waitcnt vmcnt(11)
	global_store_b64 v[31:32], v[19:20], off
	s_waitcnt vmcnt(10)
	global_store_b64 v[27:28], v[21:22], off
	;; [unrolled: 2-line block ×4, first 2 shown]
	v_or_b32_e32 v21, 0x3a00, v1
	v_mov_b32_e32 v22, v2
	v_lshlrev_b64 v[19:20], 3, v[37:38]
	v_or_b32_e32 v25, 0x3b00, v1
	v_mov_b32_e32 v26, v2
	v_add_co_u32 v23, vcc_lo, s2, v35
	v_lshlrev_b64 v[21:22], 3, v[21:22]
	v_or_b32_e32 v27, 0x3c00, v1
	v_mov_b32_e32 v28, v2
	v_add_co_ci_u32_e32 v24, vcc_lo, s3, v36, vcc_lo
	v_add_co_u32 v19, vcc_lo, s2, v19
	v_lshlrev_b64 v[25:26], 3, v[25:26]
	v_or_b32_e32 v29, 0x3d00, v1
	v_mov_b32_e32 v30, v2
	v_add_co_ci_u32_e32 v20, vcc_lo, s3, v20, vcc_lo
	;; [unrolled: 5-line block ×3, first 2 shown]
	v_add_co_u32 v25, vcc_lo, s2, v25
	v_lshlrev_b64 v[29:30], 3, v[29:30]
	v_or_b32_e32 v1, 0x3f00, v1
	v_add_co_ci_u32_e32 v26, vcc_lo, s3, v26, vcc_lo
	v_add_co_u32 v27, vcc_lo, s2, v27
	v_lshlrev_b64 v[31:32], 3, v[31:32]
	v_add_co_ci_u32_e32 v28, vcc_lo, s3, v28, vcc_lo
	v_add_co_u32 v29, vcc_lo, s2, v29
	v_lshlrev_b64 v[0:1], 3, v[1:2]
	v_add_co_ci_u32_e32 v30, vcc_lo, s3, v30, vcc_lo
	v_add_co_u32 v31, vcc_lo, s2, v31
	v_add_co_ci_u32_e32 v32, vcc_lo, s3, v32, vcc_lo
	s_delay_alu instid0(VALU_DEP_4)
	v_add_co_u32 v0, vcc_lo, s2, v0
	v_add_co_ci_u32_e32 v1, vcc_lo, s3, v1, vcc_lo
	s_waitcnt vmcnt(7)
	global_store_b64 v[23:24], v[5:6], off
	s_waitcnt vmcnt(6)
	global_store_b64 v[19:20], v[7:8], off
	;; [unrolled: 2-line block ×8, first 2 shown]
	s_nop 0
	s_sendmsg sendmsg(MSG_DEALLOC_VGPRS)
	s_endpgm
	.section	.rodata,"a",@progbits
	.p2align	6, 0x0
	.amdhsa_kernel _Z16warp_load_kernelILj256ELj64ELj32ELN6hipcub17WarpLoadAlgorithmE1EdEvPT3_S3_
		.amdhsa_group_segment_fixed_size 0
		.amdhsa_private_segment_fixed_size 0
		.amdhsa_kernarg_size 16
		.amdhsa_user_sgpr_count 15
		.amdhsa_user_sgpr_dispatch_ptr 0
		.amdhsa_user_sgpr_queue_ptr 0
		.amdhsa_user_sgpr_kernarg_segment_ptr 1
		.amdhsa_user_sgpr_dispatch_id 0
		.amdhsa_user_sgpr_private_segment_size 0
		.amdhsa_wavefront_size32 1
		.amdhsa_uses_dynamic_stack 0
		.amdhsa_enable_private_segment 0
		.amdhsa_system_sgpr_workgroup_id_x 1
		.amdhsa_system_sgpr_workgroup_id_y 0
		.amdhsa_system_sgpr_workgroup_id_z 0
		.amdhsa_system_sgpr_workgroup_info 0
		.amdhsa_system_vgpr_workitem_id 0
		.amdhsa_next_free_vgpr 145
		.amdhsa_next_free_sgpr 16
		.amdhsa_reserve_vcc 1
		.amdhsa_float_round_mode_32 0
		.amdhsa_float_round_mode_16_64 0
		.amdhsa_float_denorm_mode_32 3
		.amdhsa_float_denorm_mode_16_64 3
		.amdhsa_dx10_clamp 1
		.amdhsa_ieee_mode 1
		.amdhsa_fp16_overflow 0
		.amdhsa_workgroup_processor_mode 1
		.amdhsa_memory_ordered 1
		.amdhsa_forward_progress 0
		.amdhsa_shared_vgpr_count 0
		.amdhsa_exception_fp_ieee_invalid_op 0
		.amdhsa_exception_fp_denorm_src 0
		.amdhsa_exception_fp_ieee_div_zero 0
		.amdhsa_exception_fp_ieee_overflow 0
		.amdhsa_exception_fp_ieee_underflow 0
		.amdhsa_exception_fp_ieee_inexact 0
		.amdhsa_exception_int_div_zero 0
	.end_amdhsa_kernel
	.section	.text._Z16warp_load_kernelILj256ELj64ELj32ELN6hipcub17WarpLoadAlgorithmE1EdEvPT3_S3_,"axG",@progbits,_Z16warp_load_kernelILj256ELj64ELj32ELN6hipcub17WarpLoadAlgorithmE1EdEvPT3_S3_,comdat
.Lfunc_end35:
	.size	_Z16warp_load_kernelILj256ELj64ELj32ELN6hipcub17WarpLoadAlgorithmE1EdEvPT3_S3_, .Lfunc_end35-_Z16warp_load_kernelILj256ELj64ELj32ELN6hipcub17WarpLoadAlgorithmE1EdEvPT3_S3_
                                        ; -- End function
	.section	.AMDGPU.csdata,"",@progbits
; Kernel info:
; codeLenInByte = 3480
; NumSgprs: 18
; NumVgprs: 145
; ScratchSize: 0
; MemoryBound: 1
; FloatMode: 240
; IeeeMode: 1
; LDSByteSize: 0 bytes/workgroup (compile time only)
; SGPRBlocks: 2
; VGPRBlocks: 18
; NumSGPRsForWavesPerEU: 18
; NumVGPRsForWavesPerEU: 145
; Occupancy: 9
; WaveLimiterHint : 1
; COMPUTE_PGM_RSRC2:SCRATCH_EN: 0
; COMPUTE_PGM_RSRC2:USER_SGPR: 15
; COMPUTE_PGM_RSRC2:TRAP_HANDLER: 0
; COMPUTE_PGM_RSRC2:TGID_X_EN: 1
; COMPUTE_PGM_RSRC2:TGID_Y_EN: 0
; COMPUTE_PGM_RSRC2:TGID_Z_EN: 0
; COMPUTE_PGM_RSRC2:TIDIG_COMP_CNT: 0
	.section	.text._Z16warp_load_kernelILj256ELj64ELj32ELN6hipcub17WarpLoadAlgorithmE2EdEvPT3_S3_,"axG",@progbits,_Z16warp_load_kernelILj256ELj64ELj32ELN6hipcub17WarpLoadAlgorithmE2EdEvPT3_S3_,comdat
	.protected	_Z16warp_load_kernelILj256ELj64ELj32ELN6hipcub17WarpLoadAlgorithmE2EdEvPT3_S3_ ; -- Begin function _Z16warp_load_kernelILj256ELj64ELj32ELN6hipcub17WarpLoadAlgorithmE2EdEvPT3_S3_
	.globl	_Z16warp_load_kernelILj256ELj64ELj32ELN6hipcub17WarpLoadAlgorithmE2EdEvPT3_S3_
	.p2align	8
	.type	_Z16warp_load_kernelILj256ELj64ELj32ELN6hipcub17WarpLoadAlgorithmE2EdEvPT3_S3_,@function
_Z16warp_load_kernelILj256ELj64ELj32ELN6hipcub17WarpLoadAlgorithmE2EdEvPT3_S3_: ; @_Z16warp_load_kernelILj256ELj64ELj32ELN6hipcub17WarpLoadAlgorithmE2EdEvPT3_S3_
; %bb.0:
	s_load_b128 s[0:3], s[0:1], 0x0
	v_mov_b32_e32 v117, 0
	v_lshlrev_b32_e32 v1, 6, v0
	s_lshl_b32 s4, s15, 14
	v_mbcnt_lo_u32_b32 v3, -1, 0
	s_delay_alu instid0(VALU_DEP_3) | instskip(NEXT) | instid1(VALU_DEP_3)
	v_mov_b32_e32 v131, v117
	v_and_or_b32 v116, 0x3800, v1, s4
	v_mov_b32_e32 v133, v117
	s_delay_alu instid0(VALU_DEP_4) | instskip(SKIP_1) | instid1(VALU_DEP_4)
	v_lshlrev_b32_e32 v3, 9, v3
	v_mov_b32_e32 v141, v117
	v_lshlrev_b64 v[1:2], 3, v[116:117]
	v_or_b32_e32 v116, s4, v0
	s_delay_alu instid0(VALU_DEP_1) | instskip(SKIP_2) | instid1(VALU_DEP_4)
	v_or_b32_e32 v0, 0x200, v116
	v_lshlrev_b64 v[4:5], 3, v[116:117]
	s_waitcnt lgkmcnt(0)
	v_add_co_u32 v1, vcc_lo, s0, v1
	v_add_co_ci_u32_e32 v2, vcc_lo, s1, v2, vcc_lo
	v_or_b32_e32 v130, 0x400, v116
	s_delay_alu instid0(VALU_DEP_3) | instskip(NEXT) | instid1(VALU_DEP_3)
	v_add_co_u32 v12, vcc_lo, v1, v3
	v_add_co_ci_u32_e32 v13, vcc_lo, 0, v2, vcc_lo
	v_mov_b32_e32 v1, v117
	v_mov_b32_e32 v3, v117
	v_or_b32_e32 v2, 0x300, v116
	s_clause 0x13
	global_load_b128 v[118:121], v[12:13], off
	global_load_b128 v[122:125], v[12:13], off offset:16
	global_load_b128 v[126:129], v[12:13], off offset:32
	;; [unrolled: 1-line block ×19, first 2 shown]
	v_lshlrev_b64 v[0:1], 3, v[0:1]
	v_add_co_u32 v136, vcc_lo, s2, v4
	v_add_co_ci_u32_e32 v137, vcc_lo, s3, v5, vcc_lo
	v_lshlrev_b64 v[134:135], 3, v[2:3]
	s_delay_alu instid0(VALU_DEP_4)
	v_add_co_u32 v138, vcc_lo, s2, v0
	v_add_co_ci_u32_e32 v139, vcc_lo, s3, v1, vcc_lo
	s_clause 0xb
	global_load_b128 v[40:43], v[12:13], off offset:368
	global_load_b128 v[44:47], v[12:13], off offset:352
	;; [unrolled: 1-line block ×12, first 2 shown]
	v_or_b32_e32 v132, 0x500, v116
	v_lshlrev_b64 v[130:131], 3, v[130:131]
	v_add_co_u32 v134, vcc_lo, s2, v134
	v_add_co_ci_u32_e32 v135, vcc_lo, s3, v135, vcc_lo
	s_delay_alu instid0(VALU_DEP_4) | instskip(NEXT) | instid1(VALU_DEP_4)
	v_lshlrev_b64 v[132:133], 3, v[132:133]
	v_add_co_u32 v130, vcc_lo, s2, v130
	v_add_co_ci_u32_e32 v131, vcc_lo, s3, v131, vcc_lo
	v_or_b32_e32 v140, 0x2700, v116
	s_delay_alu instid0(VALU_DEP_4) | instskip(SKIP_1) | instid1(VALU_DEP_3)
	v_add_co_u32 v132, vcc_lo, s2, v132
	v_add_co_ci_u32_e32 v133, vcc_lo, s3, v133, vcc_lo
	v_lshlrev_b64 v[140:141], 3, v[140:141]
	s_waitcnt vmcnt(31)
	s_clause 0x1
	global_store_b64 v[136:137], v[118:119], off
	global_store_b64 v[136:137], v[120:121], off offset:2048
	v_mov_b32_e32 v119, v117
	v_or_b32_e32 v118, 0x600, v116
	v_mov_b32_e32 v121, v117
	v_or_b32_e32 v120, 0x700, v116
	v_mov_b32_e32 v136, v117
	s_waitcnt vmcnt(30)
	global_store_b64 v[138:139], v[122:123], off
	v_mov_b32_e32 v122, v117
	v_lshlrev_b64 v[118:119], 3, v[118:119]
	v_lshlrev_b64 v[120:121], 3, v[120:121]
	v_or_b32_e32 v123, 0xa00, v116
	v_mov_b32_e32 v137, v117
	v_mov_b32_e32 v139, v117
	v_or_b32_e32 v138, 0x2400, v116
	v_add_co_u32 v118, vcc_lo, s2, v118
	v_add_co_ci_u32_e32 v119, vcc_lo, s3, v119, vcc_lo
	v_add_co_u32 v120, vcc_lo, s2, v120
	v_add_co_ci_u32_e32 v121, vcc_lo, s3, v121, vcc_lo
	s_waitcnt vmcnt(28)
	s_clause 0x3
	global_store_b64 v[118:119], v[112:113], off
	global_store_b64 v[134:135], v[124:125], off
	global_store_b64 v[130:131], v[126:127], off
	global_store_b64 v[120:121], v[114:115], off
	v_or_b32_e32 v135, 0x800, v116
	v_or_b32_e32 v121, 0x900, v116
	v_mov_b32_e32 v124, v117
	v_mov_b32_e32 v134, v117
	;; [unrolled: 1-line block ×3, first 2 shown]
	v_lshlrev_b64 v[118:119], 3, v[135:136]
	v_lshlrev_b64 v[120:121], 3, v[121:122]
	;; [unrolled: 1-line block ×3, first 2 shown]
	v_or_b32_e32 v124, 0xc00, v116
	v_mov_b32_e32 v127, v117
	v_or_b32_e32 v126, 0xd00, v116
	v_add_co_u32 v118, vcc_lo, s2, v118
	v_add_co_ci_u32_e32 v119, vcc_lo, s3, v119, vcc_lo
	v_add_co_u32 v120, vcc_lo, s2, v120
	v_add_co_ci_u32_e32 v121, vcc_lo, s3, v121, vcc_lo
	global_store_b64 v[132:133], v[128:129], off
	v_or_b32_e32 v133, 0xb00, v116
	v_add_co_u32 v122, vcc_lo, s2, v122
	s_waitcnt vmcnt(27)
	global_store_b64 v[120:121], v[110:111], off
	v_add_co_ci_u32_e32 v123, vcc_lo, s3, v123, vcc_lo
	v_lshlrev_b64 v[133:134], 3, v[133:134]
	v_mov_b32_e32 v129, v117
	v_or_b32_e32 v128, 0xe00, v116
	v_mov_b32_e32 v131, v117
	v_or_b32_e32 v130, 0xf00, v116
	v_mov_b32_e32 v132, v117
	v_add_co_u32 v120, vcc_lo, s2, v133
	v_add_co_ci_u32_e32 v121, vcc_lo, s3, v134, vcc_lo
	v_mov_b32_e32 v112, v117
	v_or_b32_e32 v111, 0x1100, v116
	v_mov_b32_e32 v114, v117
	s_waitcnt vmcnt(26)
	global_store_b64 v[120:121], v[106:107], off
	v_lshlrev_b64 v[106:107], 3, v[124:125]
	v_lshlrev_b64 v[124:125], 3, v[126:127]
	;; [unrolled: 1-line block ×4, first 2 shown]
	v_or_b32_e32 v131, 0x1000, v116
	v_or_b32_e32 v113, 0x1200, v116
	v_add_co_u32 v106, vcc_lo, s2, v106
	v_add_co_ci_u32_e32 v107, vcc_lo, s3, v107, vcc_lo
	v_add_co_u32 v124, vcc_lo, s2, v124
	v_add_co_ci_u32_e32 v125, vcc_lo, s3, v125, vcc_lo
	;; [unrolled: 2-line block ×3, first 2 shown]
	global_store_b64 v[118:119], v[108:109], off
	s_waitcnt vmcnt(25)
	global_store_b64 v[106:107], v[48:49], off
	v_add_co_u32 v106, vcc_lo, s2, v129
	s_waitcnt vmcnt(24)
	global_store_b64 v[126:127], v[36:37], off
	v_add_co_ci_u32_e32 v107, vcc_lo, s3, v130, vcc_lo
	v_lshlrev_b64 v[126:127], 3, v[131:132]
	global_store_b64 v[122:123], v[104:105], off
	v_mov_b32_e32 v115, v117
	global_store_b64 v[106:107], v[38:39], off
	v_lshlrev_b64 v[106:107], 3, v[111:112]
	v_lshlrev_b64 v[111:112], 3, v[113:114]
	v_add_co_u32 v113, vcc_lo, s2, v126
	v_add_co_ci_u32_e32 v114, vcc_lo, s3, v127, vcc_lo
	s_delay_alu instid0(VALU_DEP_4)
	v_add_co_u32 v106, vcc_lo, s2, v106
	v_add_co_ci_u32_e32 v107, vcc_lo, s3, v107, vcc_lo
	global_store_b64 v[124:125], v[50:51], off
	s_waitcnt vmcnt(23)
	global_store_b64 v[113:114], v[24:25], off
	v_or_b32_e32 v114, 0x1300, v116
	global_store_b64 v[106:107], v[26:27], off
	v_mov_b32_e32 v135, v117
	v_or_b32_e32 v134, 0x1400, v116
	v_mov_b32_e32 v108, v117
	v_lshlrev_b64 v[113:114], 3, v[114:115]
	v_or_b32_e32 v107, 0x1500, v116
	v_add_co_u32 v111, vcc_lo, s2, v111
	v_lshlrev_b64 v[134:135], 3, v[134:135]
	v_mov_b32_e32 v110, v117
	v_mov_b32_e32 v133, v117
	v_or_b32_e32 v109, 0x1600, v116
	v_or_b32_e32 v132, 0x1800, v116
	v_add_co_ci_u32_e32 v112, vcc_lo, s3, v112, vcc_lo
	v_lshlrev_b64 v[106:107], 3, v[107:108]
	v_add_co_u32 v113, vcc_lo, s2, v113
	v_mov_b32_e32 v119, v117
	v_or_b32_e32 v118, 0x1700, v116
	v_add_co_ci_u32_e32 v114, vcc_lo, s3, v114, vcc_lo
	v_lshlrev_b64 v[108:109], 3, v[109:110]
	v_lshlrev_b64 v[131:132], 3, v[132:133]
	v_add_co_u32 v133, vcc_lo, s2, v134
	v_add_co_ci_u32_e32 v134, vcc_lo, s3, v135, vcc_lo
	v_lshlrev_b64 v[118:119], 3, v[118:119]
	v_add_co_u32 v106, vcc_lo, s2, v106
	v_mov_b32_e32 v105, v117
	v_or_b32_e32 v104, 0x1900, v116
	v_add_co_ci_u32_e32 v107, vcc_lo, s3, v107, vcc_lo
	v_add_co_u32 v108, vcc_lo, s2, v108
	v_mov_b32_e32 v121, v117
	v_mov_b32_e32 v128, v117
	;; [unrolled: 1-line block ×3, first 2 shown]
	v_or_b32_e32 v120, 0x1a00, v116
	v_or_b32_e32 v127, 0x1c00, v116
	;; [unrolled: 1-line block ×3, first 2 shown]
	v_add_co_ci_u32_e32 v109, vcc_lo, s3, v109, vcc_lo
	v_lshlrev_b64 v[104:105], 3, v[104:105]
	v_add_co_u32 v118, vcc_lo, s2, v118
	v_mov_b32_e32 v123, v117
	v_or_b32_e32 v122, 0x1b00, v116
	v_add_co_ci_u32_e32 v119, vcc_lo, s3, v119, vcc_lo
	v_lshlrev_b64 v[120:121], 3, v[120:121]
	v_lshlrev_b64 v[126:127], 3, v[127:128]
	;; [unrolled: 1-line block ×3, first 2 shown]
	v_add_co_u32 v130, vcc_lo, s2, v131
	v_add_co_ci_u32_e32 v131, vcc_lo, s3, v132, vcc_lo
	v_lshlrev_b64 v[122:123], 3, v[122:123]
	v_add_co_u32 v104, vcc_lo, s2, v104
	v_mov_b32_e32 v49, v117
	v_or_b32_e32 v48, 0x1d00, v116
	v_add_co_ci_u32_e32 v105, vcc_lo, s3, v105, vcc_lo
	v_add_co_u32 v120, vcc_lo, s2, v120
	v_mov_b32_e32 v51, v117
	v_or_b32_e32 v50, 0x1e00, v116
	v_add_co_ci_u32_e32 v121, vcc_lo, s3, v121, vcc_lo
	v_lshlrev_b64 v[48:49], 3, v[48:49]
	v_add_co_u32 v122, vcc_lo, s2, v122
	v_mov_b32_e32 v125, v117
	v_or_b32_e32 v124, 0x1f00, v116
	v_add_co_ci_u32_e32 v123, vcc_lo, s3, v123, vcc_lo
	v_lshlrev_b64 v[50:51], 3, v[50:51]
	v_add_co_u32 v126, vcc_lo, s2, v126
	v_add_co_ci_u32_e32 v127, vcc_lo, s3, v127, vcc_lo
	v_lshlrev_b64 v[124:125], 3, v[124:125]
	v_add_co_u32 v48, vcc_lo, s2, v48
	v_mov_b32_e32 v37, v117
	v_or_b32_e32 v36, 0x2100, v116
	v_add_co_ci_u32_e32 v49, vcc_lo, s3, v49, vcc_lo
	v_add_co_u32 v50, vcc_lo, s2, v50
	v_mov_b32_e32 v39, v117
	v_or_b32_e32 v38, 0x2200, v116
	v_add_co_ci_u32_e32 v51, vcc_lo, s3, v51, vcc_lo
	v_lshlrev_b64 v[36:37], 3, v[36:37]
	v_add_co_u32 v124, vcc_lo, s2, v124
	v_or_b32_e32 v136, 0x2300, v116
	v_add_co_ci_u32_e32 v125, vcc_lo, s3, v125, vcc_lo
	v_lshlrev_b64 v[38:39], 3, v[38:39]
	v_add_co_u32 v128, vcc_lo, s2, v128
	v_add_co_ci_u32_e32 v129, vcc_lo, s3, v129, vcc_lo
	v_lshlrev_b64 v[136:137], 3, v[136:137]
	v_add_co_u32 v36, vcc_lo, s2, v36
	v_mov_b32_e32 v25, v117
	v_or_b32_e32 v24, 0x2500, v116
	v_add_co_ci_u32_e32 v37, vcc_lo, s3, v37, vcc_lo
	v_lshlrev_b64 v[138:139], 3, v[138:139]
	v_add_co_u32 v38, vcc_lo, s2, v38
	v_mov_b32_e32 v27, v117
	v_or_b32_e32 v26, 0x2600, v116
	v_add_co_ci_u32_e32 v39, vcc_lo, s3, v39, vcc_lo
	v_lshlrev_b64 v[24:25], 3, v[24:25]
	v_add_co_u32 v135, vcc_lo, s2, v136
	v_add_co_ci_u32_e32 v136, vcc_lo, s3, v137, vcc_lo
	v_lshlrev_b64 v[26:27], 3, v[26:27]
	v_add_co_u32 v137, vcc_lo, s2, v138
	v_add_co_ci_u32_e32 v138, vcc_lo, s3, v139, vcc_lo
	v_add_co_u32 v24, vcc_lo, s2, v24
	v_add_co_ci_u32_e32 v25, vcc_lo, s3, v25, vcc_lo
	v_add_co_u32 v26, vcc_lo, s2, v26
	s_waitcnt vmcnt(22)
	s_clause 0x1
	global_store_b64 v[111:112], v[56:57], off
	global_store_b64 v[113:114], v[58:59], off
	s_waitcnt vmcnt(21)
	s_clause 0x1
	global_store_b64 v[133:134], v[64:65], off
	global_store_b64 v[106:107], v[66:67], off
	;; [unrolled: 4-line block ×9, first 2 shown]
	v_or_b32_e32 v36, 0x2800, v116
	v_mov_b32_e32 v37, v117
	v_add_co_ci_u32_e32 v27, vcc_lo, s3, v27, vcc_lo
	v_add_co_u32 v38, vcc_lo, s2, v140
	v_or_b32_e32 v48, 0x2900, v116
	v_mov_b32_e32 v49, v117
	v_add_co_ci_u32_e32 v39, vcc_lo, s3, v141, vcc_lo
	v_lshlrev_b64 v[36:37], 3, v[36:37]
	s_waitcnt vmcnt(12)
	s_clause 0x3
	global_store_b64 v[137:138], v[100:101], off
	global_store_b64 v[24:25], v[102:103], off
	;; [unrolled: 1-line block ×4, first 2 shown]
	v_or_b32_e32 v26, 0x2a00, v116
	v_mov_b32_e32 v27, v117
	v_lshlrev_b64 v[24:25], 3, v[48:49]
	v_or_b32_e32 v38, 0x2b00, v116
	v_mov_b32_e32 v39, v117
	v_add_co_u32 v36, vcc_lo, s2, v36
	v_lshlrev_b64 v[26:27], 3, v[26:27]
	v_add_co_ci_u32_e32 v37, vcc_lo, s3, v37, vcc_lo
	v_add_co_u32 v24, vcc_lo, s2, v24
	v_lshlrev_b64 v[38:39], 3, v[38:39]
	v_add_co_ci_u32_e32 v25, vcc_lo, s3, v25, vcc_lo
	v_add_co_u32 v26, vcc_lo, s2, v26
	v_or_b32_e32 v48, 0x2c00, v116
	v_add_co_ci_u32_e32 v27, vcc_lo, s3, v27, vcc_lo
	v_add_co_u32 v38, vcc_lo, s2, v38
	v_or_b32_e32 v50, 0x2d00, v116
	v_mov_b32_e32 v51, v117
	v_add_co_ci_u32_e32 v39, vcc_lo, s3, v39, vcc_lo
	v_lshlrev_b64 v[48:49], 3, v[48:49]
	s_waitcnt vmcnt(8)
	s_clause 0x3
	global_store_b64 v[36:37], v[60:61], off
	global_store_b64 v[24:25], v[62:63], off
	;; [unrolled: 1-line block ×4, first 2 shown]
	v_or_b32_e32 v26, 0x2e00, v116
	v_mov_b32_e32 v27, v117
	v_lshlrev_b64 v[24:25], 3, v[50:51]
	v_or_b32_e32 v38, 0x2f00, v116
	v_mov_b32_e32 v39, v117
	v_add_co_u32 v36, vcc_lo, s2, v48
	v_lshlrev_b64 v[26:27], 3, v[26:27]
	v_add_co_ci_u32_e32 v37, vcc_lo, s3, v49, vcc_lo
	v_add_co_u32 v24, vcc_lo, s2, v24
	v_lshlrev_b64 v[38:39], 3, v[38:39]
	v_add_co_ci_u32_e32 v25, vcc_lo, s3, v25, vcc_lo
	v_add_co_u32 v26, vcc_lo, s2, v26
	v_or_b32_e32 v48, 0x3000, v116
	v_mov_b32_e32 v49, v117
	v_add_co_ci_u32_e32 v27, vcc_lo, s3, v27, vcc_lo
	v_add_co_u32 v38, vcc_lo, s2, v38
	v_or_b32_e32 v50, 0x3100, v116
	v_add_co_ci_u32_e32 v39, vcc_lo, s3, v39, vcc_lo
	v_lshlrev_b64 v[48:49], 3, v[48:49]
	s_clause 0x3
	global_store_b64 v[36:37], v[44:45], off
	global_store_b64 v[24:25], v[46:47], off
	;; [unrolled: 1-line block ×4, first 2 shown]
	v_or_b32_e32 v26, 0x3200, v116
	v_mov_b32_e32 v27, v117
	v_lshlrev_b64 v[24:25], 3, v[50:51]
	v_or_b32_e32 v38, 0x3300, v116
	v_mov_b32_e32 v39, v117
	v_add_co_u32 v36, vcc_lo, s2, v48
	v_lshlrev_b64 v[26:27], 3, v[26:27]
	v_add_co_ci_u32_e32 v37, vcc_lo, s3, v49, vcc_lo
	v_add_co_u32 v24, vcc_lo, s2, v24
	v_lshlrev_b64 v[38:39], 3, v[38:39]
	v_add_co_ci_u32_e32 v25, vcc_lo, s3, v25, vcc_lo
	v_add_co_u32 v26, vcc_lo, s2, v26
	v_or_b32_e32 v40, 0x3400, v116
	v_mov_b32_e32 v41, v117
	v_add_co_ci_u32_e32 v27, vcc_lo, s3, v27, vcc_lo
	v_add_co_u32 v38, vcc_lo, s2, v38
	v_or_b32_e32 v42, 0x3500, v116
	v_mov_b32_e32 v43, v117
	v_add_co_ci_u32_e32 v39, vcc_lo, s3, v39, vcc_lo
	v_lshlrev_b64 v[40:41], 3, v[40:41]
	s_waitcnt vmcnt(4)
	s_clause 0x3
	global_store_b64 v[36:37], v[32:33], off
	global_store_b64 v[24:25], v[34:35], off
	;; [unrolled: 1-line block ×4, first 2 shown]
	v_or_b32_e32 v26, 0x3600, v116
	v_mov_b32_e32 v27, v117
	v_lshlrev_b64 v[24:25], 3, v[42:43]
	v_or_b32_e32 v30, 0x3700, v116
	v_mov_b32_e32 v31, v117
	v_add_co_u32 v28, vcc_lo, s2, v40
	v_lshlrev_b64 v[26:27], 3, v[26:27]
	v_add_co_ci_u32_e32 v29, vcc_lo, s3, v41, vcc_lo
	v_add_co_u32 v24, vcc_lo, s2, v24
	v_lshlrev_b64 v[30:31], 3, v[30:31]
	v_add_co_ci_u32_e32 v25, vcc_lo, s3, v25, vcc_lo
	v_add_co_u32 v26, vcc_lo, s2, v26
	v_or_b32_e32 v32, 0x3800, v116
	v_mov_b32_e32 v33, v117
	v_add_co_ci_u32_e32 v27, vcc_lo, s3, v27, vcc_lo
	v_add_co_u32 v30, vcc_lo, s2, v30
	v_or_b32_e32 v34, 0x3900, v116
	v_mov_b32_e32 v35, v117
	v_add_co_ci_u32_e32 v31, vcc_lo, s3, v31, vcc_lo
	v_lshlrev_b64 v[32:33], 3, v[32:33]
	s_clause 0x3
	global_store_b64 v[28:29], v[20:21], off
	global_store_b64 v[24:25], v[22:23], off
	global_store_b64 v[26:27], v[16:17], off
	global_store_b64 v[30:31], v[18:19], off
	v_or_b32_e32 v18, 0x3a00, v116
	v_mov_b32_e32 v19, v117
	v_lshlrev_b64 v[16:17], 3, v[34:35]
	v_or_b32_e32 v22, 0x3b00, v116
	v_mov_b32_e32 v23, v117
	v_add_co_u32 v20, vcc_lo, s2, v32
	v_lshlrev_b64 v[18:19], 3, v[18:19]
	v_or_b32_e32 v24, 0x3c00, v116
	v_mov_b32_e32 v25, v117
	v_add_co_ci_u32_e32 v21, vcc_lo, s3, v33, vcc_lo
	v_add_co_u32 v16, vcc_lo, s2, v16
	v_lshlrev_b64 v[22:23], 3, v[22:23]
	v_or_b32_e32 v26, 0x3d00, v116
	v_mov_b32_e32 v27, v117
	v_add_co_ci_u32_e32 v17, vcc_lo, s3, v17, vcc_lo
	;; [unrolled: 5-line block ×3, first 2 shown]
	v_add_co_u32 v22, vcc_lo, s2, v22
	v_lshlrev_b64 v[26:27], 3, v[26:27]
	v_or_b32_e32 v116, 0x3f00, v116
	v_add_co_ci_u32_e32 v23, vcc_lo, s3, v23, vcc_lo
	v_add_co_u32 v24, vcc_lo, s2, v24
	v_lshlrev_b64 v[28:29], 3, v[28:29]
	v_add_co_ci_u32_e32 v25, vcc_lo, s3, v25, vcc_lo
	v_add_co_u32 v26, vcc_lo, s2, v26
	v_lshlrev_b64 v[30:31], 3, v[116:117]
	v_add_co_ci_u32_e32 v27, vcc_lo, s3, v27, vcc_lo
	v_add_co_u32 v28, vcc_lo, s2, v28
	v_add_co_ci_u32_e32 v29, vcc_lo, s3, v29, vcc_lo
	s_delay_alu instid0(VALU_DEP_4)
	v_add_co_u32 v30, vcc_lo, s2, v30
	v_add_co_ci_u32_e32 v31, vcc_lo, s3, v31, vcc_lo
	s_waitcnt vmcnt(0)
	s_clause 0x7
	global_store_b64 v[20:21], v[12:13], off
	global_store_b64 v[16:17], v[14:15], off
	;; [unrolled: 1-line block ×8, first 2 shown]
	s_nop 0
	s_sendmsg sendmsg(MSG_DEALLOC_VGPRS)
	s_endpgm
	.section	.rodata,"a",@progbits
	.p2align	6, 0x0
	.amdhsa_kernel _Z16warp_load_kernelILj256ELj64ELj32ELN6hipcub17WarpLoadAlgorithmE2EdEvPT3_S3_
		.amdhsa_group_segment_fixed_size 0
		.amdhsa_private_segment_fixed_size 0
		.amdhsa_kernarg_size 16
		.amdhsa_user_sgpr_count 15
		.amdhsa_user_sgpr_dispatch_ptr 0
		.amdhsa_user_sgpr_queue_ptr 0
		.amdhsa_user_sgpr_kernarg_segment_ptr 1
		.amdhsa_user_sgpr_dispatch_id 0
		.amdhsa_user_sgpr_private_segment_size 0
		.amdhsa_wavefront_size32 1
		.amdhsa_uses_dynamic_stack 0
		.amdhsa_enable_private_segment 0
		.amdhsa_system_sgpr_workgroup_id_x 1
		.amdhsa_system_sgpr_workgroup_id_y 0
		.amdhsa_system_sgpr_workgroup_id_z 0
		.amdhsa_system_sgpr_workgroup_info 0
		.amdhsa_system_vgpr_workitem_id 0
		.amdhsa_next_free_vgpr 142
		.amdhsa_next_free_sgpr 16
		.amdhsa_reserve_vcc 1
		.amdhsa_float_round_mode_32 0
		.amdhsa_float_round_mode_16_64 0
		.amdhsa_float_denorm_mode_32 3
		.amdhsa_float_denorm_mode_16_64 3
		.amdhsa_dx10_clamp 1
		.amdhsa_ieee_mode 1
		.amdhsa_fp16_overflow 0
		.amdhsa_workgroup_processor_mode 1
		.amdhsa_memory_ordered 1
		.amdhsa_forward_progress 0
		.amdhsa_shared_vgpr_count 0
		.amdhsa_exception_fp_ieee_invalid_op 0
		.amdhsa_exception_fp_denorm_src 0
		.amdhsa_exception_fp_ieee_div_zero 0
		.amdhsa_exception_fp_ieee_overflow 0
		.amdhsa_exception_fp_ieee_underflow 0
		.amdhsa_exception_fp_ieee_inexact 0
		.amdhsa_exception_int_div_zero 0
	.end_amdhsa_kernel
	.section	.text._Z16warp_load_kernelILj256ELj64ELj32ELN6hipcub17WarpLoadAlgorithmE2EdEvPT3_S3_,"axG",@progbits,_Z16warp_load_kernelILj256ELj64ELj32ELN6hipcub17WarpLoadAlgorithmE2EdEvPT3_S3_,comdat
.Lfunc_end36:
	.size	_Z16warp_load_kernelILj256ELj64ELj32ELN6hipcub17WarpLoadAlgorithmE2EdEvPT3_S3_, .Lfunc_end36-_Z16warp_load_kernelILj256ELj64ELj32ELN6hipcub17WarpLoadAlgorithmE2EdEvPT3_S3_
                                        ; -- End function
	.section	.AMDGPU.csdata,"",@progbits
; Kernel info:
; codeLenInByte = 3052
; NumSgprs: 18
; NumVgprs: 142
; ScratchSize: 0
; MemoryBound: 1
; FloatMode: 240
; IeeeMode: 1
; LDSByteSize: 0 bytes/workgroup (compile time only)
; SGPRBlocks: 2
; VGPRBlocks: 17
; NumSGPRsForWavesPerEU: 18
; NumVGPRsForWavesPerEU: 142
; Occupancy: 10
; WaveLimiterHint : 1
; COMPUTE_PGM_RSRC2:SCRATCH_EN: 0
; COMPUTE_PGM_RSRC2:USER_SGPR: 15
; COMPUTE_PGM_RSRC2:TRAP_HANDLER: 0
; COMPUTE_PGM_RSRC2:TGID_X_EN: 1
; COMPUTE_PGM_RSRC2:TGID_Y_EN: 0
; COMPUTE_PGM_RSRC2:TGID_Z_EN: 0
; COMPUTE_PGM_RSRC2:TIDIG_COMP_CNT: 0
	.section	.text._Z16warp_load_kernelILj256ELj4ELj64ELN6hipcub17WarpLoadAlgorithmE0EiEvPT3_S3_,"axG",@progbits,_Z16warp_load_kernelILj256ELj4ELj64ELN6hipcub17WarpLoadAlgorithmE0EiEvPT3_S3_,comdat
	.protected	_Z16warp_load_kernelILj256ELj4ELj64ELN6hipcub17WarpLoadAlgorithmE0EiEvPT3_S3_ ; -- Begin function _Z16warp_load_kernelILj256ELj4ELj64ELN6hipcub17WarpLoadAlgorithmE0EiEvPT3_S3_
	.globl	_Z16warp_load_kernelILj256ELj4ELj64ELN6hipcub17WarpLoadAlgorithmE0EiEvPT3_S3_
	.p2align	8
	.type	_Z16warp_load_kernelILj256ELj4ELj64ELN6hipcub17WarpLoadAlgorithmE0EiEvPT3_S3_,@function
_Z16warp_load_kernelILj256ELj4ELj64ELN6hipcub17WarpLoadAlgorithmE0EiEvPT3_S3_: ; @_Z16warp_load_kernelILj256ELj4ELj64ELN6hipcub17WarpLoadAlgorithmE0EiEvPT3_S3_
; %bb.0:
	s_endpgm
	.section	.rodata,"a",@progbits
	.p2align	6, 0x0
	.amdhsa_kernel _Z16warp_load_kernelILj256ELj4ELj64ELN6hipcub17WarpLoadAlgorithmE0EiEvPT3_S3_
		.amdhsa_group_segment_fixed_size 0
		.amdhsa_private_segment_fixed_size 0
		.amdhsa_kernarg_size 16
		.amdhsa_user_sgpr_count 15
		.amdhsa_user_sgpr_dispatch_ptr 0
		.amdhsa_user_sgpr_queue_ptr 0
		.amdhsa_user_sgpr_kernarg_segment_ptr 1
		.amdhsa_user_sgpr_dispatch_id 0
		.amdhsa_user_sgpr_private_segment_size 0
		.amdhsa_wavefront_size32 1
		.amdhsa_uses_dynamic_stack 0
		.amdhsa_enable_private_segment 0
		.amdhsa_system_sgpr_workgroup_id_x 1
		.amdhsa_system_sgpr_workgroup_id_y 0
		.amdhsa_system_sgpr_workgroup_id_z 0
		.amdhsa_system_sgpr_workgroup_info 0
		.amdhsa_system_vgpr_workitem_id 0
		.amdhsa_next_free_vgpr 1
		.amdhsa_next_free_sgpr 1
		.amdhsa_reserve_vcc 0
		.amdhsa_float_round_mode_32 0
		.amdhsa_float_round_mode_16_64 0
		.amdhsa_float_denorm_mode_32 3
		.amdhsa_float_denorm_mode_16_64 3
		.amdhsa_dx10_clamp 1
		.amdhsa_ieee_mode 1
		.amdhsa_fp16_overflow 0
		.amdhsa_workgroup_processor_mode 1
		.amdhsa_memory_ordered 1
		.amdhsa_forward_progress 0
		.amdhsa_shared_vgpr_count 0
		.amdhsa_exception_fp_ieee_invalid_op 0
		.amdhsa_exception_fp_denorm_src 0
		.amdhsa_exception_fp_ieee_div_zero 0
		.amdhsa_exception_fp_ieee_overflow 0
		.amdhsa_exception_fp_ieee_underflow 0
		.amdhsa_exception_fp_ieee_inexact 0
		.amdhsa_exception_int_div_zero 0
	.end_amdhsa_kernel
	.section	.text._Z16warp_load_kernelILj256ELj4ELj64ELN6hipcub17WarpLoadAlgorithmE0EiEvPT3_S3_,"axG",@progbits,_Z16warp_load_kernelILj256ELj4ELj64ELN6hipcub17WarpLoadAlgorithmE0EiEvPT3_S3_,comdat
.Lfunc_end37:
	.size	_Z16warp_load_kernelILj256ELj4ELj64ELN6hipcub17WarpLoadAlgorithmE0EiEvPT3_S3_, .Lfunc_end37-_Z16warp_load_kernelILj256ELj4ELj64ELN6hipcub17WarpLoadAlgorithmE0EiEvPT3_S3_
                                        ; -- End function
	.section	.AMDGPU.csdata,"",@progbits
; Kernel info:
; codeLenInByte = 4
; NumSgprs: 0
; NumVgprs: 0
; ScratchSize: 0
; MemoryBound: 0
; FloatMode: 240
; IeeeMode: 1
; LDSByteSize: 0 bytes/workgroup (compile time only)
; SGPRBlocks: 0
; VGPRBlocks: 0
; NumSGPRsForWavesPerEU: 1
; NumVGPRsForWavesPerEU: 1
; Occupancy: 16
; WaveLimiterHint : 0
; COMPUTE_PGM_RSRC2:SCRATCH_EN: 0
; COMPUTE_PGM_RSRC2:USER_SGPR: 15
; COMPUTE_PGM_RSRC2:TRAP_HANDLER: 0
; COMPUTE_PGM_RSRC2:TGID_X_EN: 1
; COMPUTE_PGM_RSRC2:TGID_Y_EN: 0
; COMPUTE_PGM_RSRC2:TGID_Z_EN: 0
; COMPUTE_PGM_RSRC2:TIDIG_COMP_CNT: 0
	.section	.text._Z16warp_load_kernelILj256ELj4ELj64ELN6hipcub17WarpLoadAlgorithmE1EiEvPT3_S3_,"axG",@progbits,_Z16warp_load_kernelILj256ELj4ELj64ELN6hipcub17WarpLoadAlgorithmE1EiEvPT3_S3_,comdat
	.protected	_Z16warp_load_kernelILj256ELj4ELj64ELN6hipcub17WarpLoadAlgorithmE1EiEvPT3_S3_ ; -- Begin function _Z16warp_load_kernelILj256ELj4ELj64ELN6hipcub17WarpLoadAlgorithmE1EiEvPT3_S3_
	.globl	_Z16warp_load_kernelILj256ELj4ELj64ELN6hipcub17WarpLoadAlgorithmE1EiEvPT3_S3_
	.p2align	8
	.type	_Z16warp_load_kernelILj256ELj4ELj64ELN6hipcub17WarpLoadAlgorithmE1EiEvPT3_S3_,@function
_Z16warp_load_kernelILj256ELj4ELj64ELN6hipcub17WarpLoadAlgorithmE1EiEvPT3_S3_: ; @_Z16warp_load_kernelILj256ELj4ELj64ELN6hipcub17WarpLoadAlgorithmE1EiEvPT3_S3_
; %bb.0:
	s_endpgm
	.section	.rodata,"a",@progbits
	.p2align	6, 0x0
	.amdhsa_kernel _Z16warp_load_kernelILj256ELj4ELj64ELN6hipcub17WarpLoadAlgorithmE1EiEvPT3_S3_
		.amdhsa_group_segment_fixed_size 0
		.amdhsa_private_segment_fixed_size 0
		.amdhsa_kernarg_size 16
		.amdhsa_user_sgpr_count 15
		.amdhsa_user_sgpr_dispatch_ptr 0
		.amdhsa_user_sgpr_queue_ptr 0
		.amdhsa_user_sgpr_kernarg_segment_ptr 1
		.amdhsa_user_sgpr_dispatch_id 0
		.amdhsa_user_sgpr_private_segment_size 0
		.amdhsa_wavefront_size32 1
		.amdhsa_uses_dynamic_stack 0
		.amdhsa_enable_private_segment 0
		.amdhsa_system_sgpr_workgroup_id_x 1
		.amdhsa_system_sgpr_workgroup_id_y 0
		.amdhsa_system_sgpr_workgroup_id_z 0
		.amdhsa_system_sgpr_workgroup_info 0
		.amdhsa_system_vgpr_workitem_id 0
		.amdhsa_next_free_vgpr 1
		.amdhsa_next_free_sgpr 1
		.amdhsa_reserve_vcc 0
		.amdhsa_float_round_mode_32 0
		.amdhsa_float_round_mode_16_64 0
		.amdhsa_float_denorm_mode_32 3
		.amdhsa_float_denorm_mode_16_64 3
		.amdhsa_dx10_clamp 1
		.amdhsa_ieee_mode 1
		.amdhsa_fp16_overflow 0
		.amdhsa_workgroup_processor_mode 1
		.amdhsa_memory_ordered 1
		.amdhsa_forward_progress 0
		.amdhsa_shared_vgpr_count 0
		.amdhsa_exception_fp_ieee_invalid_op 0
		.amdhsa_exception_fp_denorm_src 0
		.amdhsa_exception_fp_ieee_div_zero 0
		.amdhsa_exception_fp_ieee_overflow 0
		.amdhsa_exception_fp_ieee_underflow 0
		.amdhsa_exception_fp_ieee_inexact 0
		.amdhsa_exception_int_div_zero 0
	.end_amdhsa_kernel
	.section	.text._Z16warp_load_kernelILj256ELj4ELj64ELN6hipcub17WarpLoadAlgorithmE1EiEvPT3_S3_,"axG",@progbits,_Z16warp_load_kernelILj256ELj4ELj64ELN6hipcub17WarpLoadAlgorithmE1EiEvPT3_S3_,comdat
.Lfunc_end38:
	.size	_Z16warp_load_kernelILj256ELj4ELj64ELN6hipcub17WarpLoadAlgorithmE1EiEvPT3_S3_, .Lfunc_end38-_Z16warp_load_kernelILj256ELj4ELj64ELN6hipcub17WarpLoadAlgorithmE1EiEvPT3_S3_
                                        ; -- End function
	.section	.AMDGPU.csdata,"",@progbits
; Kernel info:
; codeLenInByte = 4
; NumSgprs: 0
; NumVgprs: 0
; ScratchSize: 0
; MemoryBound: 0
; FloatMode: 240
; IeeeMode: 1
; LDSByteSize: 0 bytes/workgroup (compile time only)
; SGPRBlocks: 0
; VGPRBlocks: 0
; NumSGPRsForWavesPerEU: 1
; NumVGPRsForWavesPerEU: 1
; Occupancy: 16
; WaveLimiterHint : 0
; COMPUTE_PGM_RSRC2:SCRATCH_EN: 0
; COMPUTE_PGM_RSRC2:USER_SGPR: 15
; COMPUTE_PGM_RSRC2:TRAP_HANDLER: 0
; COMPUTE_PGM_RSRC2:TGID_X_EN: 1
; COMPUTE_PGM_RSRC2:TGID_Y_EN: 0
; COMPUTE_PGM_RSRC2:TGID_Z_EN: 0
; COMPUTE_PGM_RSRC2:TIDIG_COMP_CNT: 0
	.section	.text._Z16warp_load_kernelILj256ELj4ELj64ELN6hipcub17WarpLoadAlgorithmE2EiEvPT3_S3_,"axG",@progbits,_Z16warp_load_kernelILj256ELj4ELj64ELN6hipcub17WarpLoadAlgorithmE2EiEvPT3_S3_,comdat
	.protected	_Z16warp_load_kernelILj256ELj4ELj64ELN6hipcub17WarpLoadAlgorithmE2EiEvPT3_S3_ ; -- Begin function _Z16warp_load_kernelILj256ELj4ELj64ELN6hipcub17WarpLoadAlgorithmE2EiEvPT3_S3_
	.globl	_Z16warp_load_kernelILj256ELj4ELj64ELN6hipcub17WarpLoadAlgorithmE2EiEvPT3_S3_
	.p2align	8
	.type	_Z16warp_load_kernelILj256ELj4ELj64ELN6hipcub17WarpLoadAlgorithmE2EiEvPT3_S3_,@function
_Z16warp_load_kernelILj256ELj4ELj64ELN6hipcub17WarpLoadAlgorithmE2EiEvPT3_S3_: ; @_Z16warp_load_kernelILj256ELj4ELj64ELN6hipcub17WarpLoadAlgorithmE2EiEvPT3_S3_
; %bb.0:
	s_endpgm
	.section	.rodata,"a",@progbits
	.p2align	6, 0x0
	.amdhsa_kernel _Z16warp_load_kernelILj256ELj4ELj64ELN6hipcub17WarpLoadAlgorithmE2EiEvPT3_S3_
		.amdhsa_group_segment_fixed_size 0
		.amdhsa_private_segment_fixed_size 0
		.amdhsa_kernarg_size 16
		.amdhsa_user_sgpr_count 15
		.amdhsa_user_sgpr_dispatch_ptr 0
		.amdhsa_user_sgpr_queue_ptr 0
		.amdhsa_user_sgpr_kernarg_segment_ptr 1
		.amdhsa_user_sgpr_dispatch_id 0
		.amdhsa_user_sgpr_private_segment_size 0
		.amdhsa_wavefront_size32 1
		.amdhsa_uses_dynamic_stack 0
		.amdhsa_enable_private_segment 0
		.amdhsa_system_sgpr_workgroup_id_x 1
		.amdhsa_system_sgpr_workgroup_id_y 0
		.amdhsa_system_sgpr_workgroup_id_z 0
		.amdhsa_system_sgpr_workgroup_info 0
		.amdhsa_system_vgpr_workitem_id 0
		.amdhsa_next_free_vgpr 1
		.amdhsa_next_free_sgpr 1
		.amdhsa_reserve_vcc 0
		.amdhsa_float_round_mode_32 0
		.amdhsa_float_round_mode_16_64 0
		.amdhsa_float_denorm_mode_32 3
		.amdhsa_float_denorm_mode_16_64 3
		.amdhsa_dx10_clamp 1
		.amdhsa_ieee_mode 1
		.amdhsa_fp16_overflow 0
		.amdhsa_workgroup_processor_mode 1
		.amdhsa_memory_ordered 1
		.amdhsa_forward_progress 0
		.amdhsa_shared_vgpr_count 0
		.amdhsa_exception_fp_ieee_invalid_op 0
		.amdhsa_exception_fp_denorm_src 0
		.amdhsa_exception_fp_ieee_div_zero 0
		.amdhsa_exception_fp_ieee_overflow 0
		.amdhsa_exception_fp_ieee_underflow 0
		.amdhsa_exception_fp_ieee_inexact 0
		.amdhsa_exception_int_div_zero 0
	.end_amdhsa_kernel
	.section	.text._Z16warp_load_kernelILj256ELj4ELj64ELN6hipcub17WarpLoadAlgorithmE2EiEvPT3_S3_,"axG",@progbits,_Z16warp_load_kernelILj256ELj4ELj64ELN6hipcub17WarpLoadAlgorithmE2EiEvPT3_S3_,comdat
.Lfunc_end39:
	.size	_Z16warp_load_kernelILj256ELj4ELj64ELN6hipcub17WarpLoadAlgorithmE2EiEvPT3_S3_, .Lfunc_end39-_Z16warp_load_kernelILj256ELj4ELj64ELN6hipcub17WarpLoadAlgorithmE2EiEvPT3_S3_
                                        ; -- End function
	.section	.AMDGPU.csdata,"",@progbits
; Kernel info:
; codeLenInByte = 4
; NumSgprs: 0
; NumVgprs: 0
; ScratchSize: 0
; MemoryBound: 0
; FloatMode: 240
; IeeeMode: 1
; LDSByteSize: 0 bytes/workgroup (compile time only)
; SGPRBlocks: 0
; VGPRBlocks: 0
; NumSGPRsForWavesPerEU: 1
; NumVGPRsForWavesPerEU: 1
; Occupancy: 16
; WaveLimiterHint : 0
; COMPUTE_PGM_RSRC2:SCRATCH_EN: 0
; COMPUTE_PGM_RSRC2:USER_SGPR: 15
; COMPUTE_PGM_RSRC2:TRAP_HANDLER: 0
; COMPUTE_PGM_RSRC2:TGID_X_EN: 1
; COMPUTE_PGM_RSRC2:TGID_Y_EN: 0
; COMPUTE_PGM_RSRC2:TGID_Z_EN: 0
; COMPUTE_PGM_RSRC2:TIDIG_COMP_CNT: 0
	.section	.text._Z16warp_load_kernelILj256ELj4ELj64ELN6hipcub17WarpLoadAlgorithmE3EiEvPT3_S3_,"axG",@progbits,_Z16warp_load_kernelILj256ELj4ELj64ELN6hipcub17WarpLoadAlgorithmE3EiEvPT3_S3_,comdat
	.protected	_Z16warp_load_kernelILj256ELj4ELj64ELN6hipcub17WarpLoadAlgorithmE3EiEvPT3_S3_ ; -- Begin function _Z16warp_load_kernelILj256ELj4ELj64ELN6hipcub17WarpLoadAlgorithmE3EiEvPT3_S3_
	.globl	_Z16warp_load_kernelILj256ELj4ELj64ELN6hipcub17WarpLoadAlgorithmE3EiEvPT3_S3_
	.p2align	8
	.type	_Z16warp_load_kernelILj256ELj4ELj64ELN6hipcub17WarpLoadAlgorithmE3EiEvPT3_S3_,@function
_Z16warp_load_kernelILj256ELj4ELj64ELN6hipcub17WarpLoadAlgorithmE3EiEvPT3_S3_: ; @_Z16warp_load_kernelILj256ELj4ELj64ELN6hipcub17WarpLoadAlgorithmE3EiEvPT3_S3_
; %bb.0:
	s_endpgm
	.section	.rodata,"a",@progbits
	.p2align	6, 0x0
	.amdhsa_kernel _Z16warp_load_kernelILj256ELj4ELj64ELN6hipcub17WarpLoadAlgorithmE3EiEvPT3_S3_
		.amdhsa_group_segment_fixed_size 0
		.amdhsa_private_segment_fixed_size 0
		.amdhsa_kernarg_size 16
		.amdhsa_user_sgpr_count 15
		.amdhsa_user_sgpr_dispatch_ptr 0
		.amdhsa_user_sgpr_queue_ptr 0
		.amdhsa_user_sgpr_kernarg_segment_ptr 1
		.amdhsa_user_sgpr_dispatch_id 0
		.amdhsa_user_sgpr_private_segment_size 0
		.amdhsa_wavefront_size32 1
		.amdhsa_uses_dynamic_stack 0
		.amdhsa_enable_private_segment 0
		.amdhsa_system_sgpr_workgroup_id_x 1
		.amdhsa_system_sgpr_workgroup_id_y 0
		.amdhsa_system_sgpr_workgroup_id_z 0
		.amdhsa_system_sgpr_workgroup_info 0
		.amdhsa_system_vgpr_workitem_id 0
		.amdhsa_next_free_vgpr 1
		.amdhsa_next_free_sgpr 1
		.amdhsa_reserve_vcc 0
		.amdhsa_float_round_mode_32 0
		.amdhsa_float_round_mode_16_64 0
		.amdhsa_float_denorm_mode_32 3
		.amdhsa_float_denorm_mode_16_64 3
		.amdhsa_dx10_clamp 1
		.amdhsa_ieee_mode 1
		.amdhsa_fp16_overflow 0
		.amdhsa_workgroup_processor_mode 1
		.amdhsa_memory_ordered 1
		.amdhsa_forward_progress 0
		.amdhsa_shared_vgpr_count 0
		.amdhsa_exception_fp_ieee_invalid_op 0
		.amdhsa_exception_fp_denorm_src 0
		.amdhsa_exception_fp_ieee_div_zero 0
		.amdhsa_exception_fp_ieee_overflow 0
		.amdhsa_exception_fp_ieee_underflow 0
		.amdhsa_exception_fp_ieee_inexact 0
		.amdhsa_exception_int_div_zero 0
	.end_amdhsa_kernel
	.section	.text._Z16warp_load_kernelILj256ELj4ELj64ELN6hipcub17WarpLoadAlgorithmE3EiEvPT3_S3_,"axG",@progbits,_Z16warp_load_kernelILj256ELj4ELj64ELN6hipcub17WarpLoadAlgorithmE3EiEvPT3_S3_,comdat
.Lfunc_end40:
	.size	_Z16warp_load_kernelILj256ELj4ELj64ELN6hipcub17WarpLoadAlgorithmE3EiEvPT3_S3_, .Lfunc_end40-_Z16warp_load_kernelILj256ELj4ELj64ELN6hipcub17WarpLoadAlgorithmE3EiEvPT3_S3_
                                        ; -- End function
	.section	.AMDGPU.csdata,"",@progbits
; Kernel info:
; codeLenInByte = 4
; NumSgprs: 0
; NumVgprs: 0
; ScratchSize: 0
; MemoryBound: 0
; FloatMode: 240
; IeeeMode: 1
; LDSByteSize: 0 bytes/workgroup (compile time only)
; SGPRBlocks: 0
; VGPRBlocks: 0
; NumSGPRsForWavesPerEU: 1
; NumVGPRsForWavesPerEU: 1
; Occupancy: 16
; WaveLimiterHint : 0
; COMPUTE_PGM_RSRC2:SCRATCH_EN: 0
; COMPUTE_PGM_RSRC2:USER_SGPR: 15
; COMPUTE_PGM_RSRC2:TRAP_HANDLER: 0
; COMPUTE_PGM_RSRC2:TGID_X_EN: 1
; COMPUTE_PGM_RSRC2:TGID_Y_EN: 0
; COMPUTE_PGM_RSRC2:TGID_Z_EN: 0
; COMPUTE_PGM_RSRC2:TIDIG_COMP_CNT: 0
	.section	.text._Z16warp_load_kernelILj256ELj8ELj64ELN6hipcub17WarpLoadAlgorithmE0EiEvPT3_S3_,"axG",@progbits,_Z16warp_load_kernelILj256ELj8ELj64ELN6hipcub17WarpLoadAlgorithmE0EiEvPT3_S3_,comdat
	.protected	_Z16warp_load_kernelILj256ELj8ELj64ELN6hipcub17WarpLoadAlgorithmE0EiEvPT3_S3_ ; -- Begin function _Z16warp_load_kernelILj256ELj8ELj64ELN6hipcub17WarpLoadAlgorithmE0EiEvPT3_S3_
	.globl	_Z16warp_load_kernelILj256ELj8ELj64ELN6hipcub17WarpLoadAlgorithmE0EiEvPT3_S3_
	.p2align	8
	.type	_Z16warp_load_kernelILj256ELj8ELj64ELN6hipcub17WarpLoadAlgorithmE0EiEvPT3_S3_,@function
_Z16warp_load_kernelILj256ELj8ELj64ELN6hipcub17WarpLoadAlgorithmE0EiEvPT3_S3_: ; @_Z16warp_load_kernelILj256ELj8ELj64ELN6hipcub17WarpLoadAlgorithmE0EiEvPT3_S3_
; %bb.0:
	s_endpgm
	.section	.rodata,"a",@progbits
	.p2align	6, 0x0
	.amdhsa_kernel _Z16warp_load_kernelILj256ELj8ELj64ELN6hipcub17WarpLoadAlgorithmE0EiEvPT3_S3_
		.amdhsa_group_segment_fixed_size 0
		.amdhsa_private_segment_fixed_size 0
		.amdhsa_kernarg_size 16
		.amdhsa_user_sgpr_count 15
		.amdhsa_user_sgpr_dispatch_ptr 0
		.amdhsa_user_sgpr_queue_ptr 0
		.amdhsa_user_sgpr_kernarg_segment_ptr 1
		.amdhsa_user_sgpr_dispatch_id 0
		.amdhsa_user_sgpr_private_segment_size 0
		.amdhsa_wavefront_size32 1
		.amdhsa_uses_dynamic_stack 0
		.amdhsa_enable_private_segment 0
		.amdhsa_system_sgpr_workgroup_id_x 1
		.amdhsa_system_sgpr_workgroup_id_y 0
		.amdhsa_system_sgpr_workgroup_id_z 0
		.amdhsa_system_sgpr_workgroup_info 0
		.amdhsa_system_vgpr_workitem_id 0
		.amdhsa_next_free_vgpr 1
		.amdhsa_next_free_sgpr 1
		.amdhsa_reserve_vcc 0
		.amdhsa_float_round_mode_32 0
		.amdhsa_float_round_mode_16_64 0
		.amdhsa_float_denorm_mode_32 3
		.amdhsa_float_denorm_mode_16_64 3
		.amdhsa_dx10_clamp 1
		.amdhsa_ieee_mode 1
		.amdhsa_fp16_overflow 0
		.amdhsa_workgroup_processor_mode 1
		.amdhsa_memory_ordered 1
		.amdhsa_forward_progress 0
		.amdhsa_shared_vgpr_count 0
		.amdhsa_exception_fp_ieee_invalid_op 0
		.amdhsa_exception_fp_denorm_src 0
		.amdhsa_exception_fp_ieee_div_zero 0
		.amdhsa_exception_fp_ieee_overflow 0
		.amdhsa_exception_fp_ieee_underflow 0
		.amdhsa_exception_fp_ieee_inexact 0
		.amdhsa_exception_int_div_zero 0
	.end_amdhsa_kernel
	.section	.text._Z16warp_load_kernelILj256ELj8ELj64ELN6hipcub17WarpLoadAlgorithmE0EiEvPT3_S3_,"axG",@progbits,_Z16warp_load_kernelILj256ELj8ELj64ELN6hipcub17WarpLoadAlgorithmE0EiEvPT3_S3_,comdat
.Lfunc_end41:
	.size	_Z16warp_load_kernelILj256ELj8ELj64ELN6hipcub17WarpLoadAlgorithmE0EiEvPT3_S3_, .Lfunc_end41-_Z16warp_load_kernelILj256ELj8ELj64ELN6hipcub17WarpLoadAlgorithmE0EiEvPT3_S3_
                                        ; -- End function
	.section	.AMDGPU.csdata,"",@progbits
; Kernel info:
; codeLenInByte = 4
; NumSgprs: 0
; NumVgprs: 0
; ScratchSize: 0
; MemoryBound: 0
; FloatMode: 240
; IeeeMode: 1
; LDSByteSize: 0 bytes/workgroup (compile time only)
; SGPRBlocks: 0
; VGPRBlocks: 0
; NumSGPRsForWavesPerEU: 1
; NumVGPRsForWavesPerEU: 1
; Occupancy: 16
; WaveLimiterHint : 0
; COMPUTE_PGM_RSRC2:SCRATCH_EN: 0
; COMPUTE_PGM_RSRC2:USER_SGPR: 15
; COMPUTE_PGM_RSRC2:TRAP_HANDLER: 0
; COMPUTE_PGM_RSRC2:TGID_X_EN: 1
; COMPUTE_PGM_RSRC2:TGID_Y_EN: 0
; COMPUTE_PGM_RSRC2:TGID_Z_EN: 0
; COMPUTE_PGM_RSRC2:TIDIG_COMP_CNT: 0
	.section	.text._Z16warp_load_kernelILj256ELj8ELj64ELN6hipcub17WarpLoadAlgorithmE1EiEvPT3_S3_,"axG",@progbits,_Z16warp_load_kernelILj256ELj8ELj64ELN6hipcub17WarpLoadAlgorithmE1EiEvPT3_S3_,comdat
	.protected	_Z16warp_load_kernelILj256ELj8ELj64ELN6hipcub17WarpLoadAlgorithmE1EiEvPT3_S3_ ; -- Begin function _Z16warp_load_kernelILj256ELj8ELj64ELN6hipcub17WarpLoadAlgorithmE1EiEvPT3_S3_
	.globl	_Z16warp_load_kernelILj256ELj8ELj64ELN6hipcub17WarpLoadAlgorithmE1EiEvPT3_S3_
	.p2align	8
	.type	_Z16warp_load_kernelILj256ELj8ELj64ELN6hipcub17WarpLoadAlgorithmE1EiEvPT3_S3_,@function
_Z16warp_load_kernelILj256ELj8ELj64ELN6hipcub17WarpLoadAlgorithmE1EiEvPT3_S3_: ; @_Z16warp_load_kernelILj256ELj8ELj64ELN6hipcub17WarpLoadAlgorithmE1EiEvPT3_S3_
; %bb.0:
	s_endpgm
	.section	.rodata,"a",@progbits
	.p2align	6, 0x0
	.amdhsa_kernel _Z16warp_load_kernelILj256ELj8ELj64ELN6hipcub17WarpLoadAlgorithmE1EiEvPT3_S3_
		.amdhsa_group_segment_fixed_size 0
		.amdhsa_private_segment_fixed_size 0
		.amdhsa_kernarg_size 16
		.amdhsa_user_sgpr_count 15
		.amdhsa_user_sgpr_dispatch_ptr 0
		.amdhsa_user_sgpr_queue_ptr 0
		.amdhsa_user_sgpr_kernarg_segment_ptr 1
		.amdhsa_user_sgpr_dispatch_id 0
		.amdhsa_user_sgpr_private_segment_size 0
		.amdhsa_wavefront_size32 1
		.amdhsa_uses_dynamic_stack 0
		.amdhsa_enable_private_segment 0
		.amdhsa_system_sgpr_workgroup_id_x 1
		.amdhsa_system_sgpr_workgroup_id_y 0
		.amdhsa_system_sgpr_workgroup_id_z 0
		.amdhsa_system_sgpr_workgroup_info 0
		.amdhsa_system_vgpr_workitem_id 0
		.amdhsa_next_free_vgpr 1
		.amdhsa_next_free_sgpr 1
		.amdhsa_reserve_vcc 0
		.amdhsa_float_round_mode_32 0
		.amdhsa_float_round_mode_16_64 0
		.amdhsa_float_denorm_mode_32 3
		.amdhsa_float_denorm_mode_16_64 3
		.amdhsa_dx10_clamp 1
		.amdhsa_ieee_mode 1
		.amdhsa_fp16_overflow 0
		.amdhsa_workgroup_processor_mode 1
		.amdhsa_memory_ordered 1
		.amdhsa_forward_progress 0
		.amdhsa_shared_vgpr_count 0
		.amdhsa_exception_fp_ieee_invalid_op 0
		.amdhsa_exception_fp_denorm_src 0
		.amdhsa_exception_fp_ieee_div_zero 0
		.amdhsa_exception_fp_ieee_overflow 0
		.amdhsa_exception_fp_ieee_underflow 0
		.amdhsa_exception_fp_ieee_inexact 0
		.amdhsa_exception_int_div_zero 0
	.end_amdhsa_kernel
	.section	.text._Z16warp_load_kernelILj256ELj8ELj64ELN6hipcub17WarpLoadAlgorithmE1EiEvPT3_S3_,"axG",@progbits,_Z16warp_load_kernelILj256ELj8ELj64ELN6hipcub17WarpLoadAlgorithmE1EiEvPT3_S3_,comdat
.Lfunc_end42:
	.size	_Z16warp_load_kernelILj256ELj8ELj64ELN6hipcub17WarpLoadAlgorithmE1EiEvPT3_S3_, .Lfunc_end42-_Z16warp_load_kernelILj256ELj8ELj64ELN6hipcub17WarpLoadAlgorithmE1EiEvPT3_S3_
                                        ; -- End function
	.section	.AMDGPU.csdata,"",@progbits
; Kernel info:
; codeLenInByte = 4
; NumSgprs: 0
; NumVgprs: 0
; ScratchSize: 0
; MemoryBound: 0
; FloatMode: 240
; IeeeMode: 1
; LDSByteSize: 0 bytes/workgroup (compile time only)
; SGPRBlocks: 0
; VGPRBlocks: 0
; NumSGPRsForWavesPerEU: 1
; NumVGPRsForWavesPerEU: 1
; Occupancy: 16
; WaveLimiterHint : 0
; COMPUTE_PGM_RSRC2:SCRATCH_EN: 0
; COMPUTE_PGM_RSRC2:USER_SGPR: 15
; COMPUTE_PGM_RSRC2:TRAP_HANDLER: 0
; COMPUTE_PGM_RSRC2:TGID_X_EN: 1
; COMPUTE_PGM_RSRC2:TGID_Y_EN: 0
; COMPUTE_PGM_RSRC2:TGID_Z_EN: 0
; COMPUTE_PGM_RSRC2:TIDIG_COMP_CNT: 0
	.section	.text._Z16warp_load_kernelILj256ELj8ELj64ELN6hipcub17WarpLoadAlgorithmE2EiEvPT3_S3_,"axG",@progbits,_Z16warp_load_kernelILj256ELj8ELj64ELN6hipcub17WarpLoadAlgorithmE2EiEvPT3_S3_,comdat
	.protected	_Z16warp_load_kernelILj256ELj8ELj64ELN6hipcub17WarpLoadAlgorithmE2EiEvPT3_S3_ ; -- Begin function _Z16warp_load_kernelILj256ELj8ELj64ELN6hipcub17WarpLoadAlgorithmE2EiEvPT3_S3_
	.globl	_Z16warp_load_kernelILj256ELj8ELj64ELN6hipcub17WarpLoadAlgorithmE2EiEvPT3_S3_
	.p2align	8
	.type	_Z16warp_load_kernelILj256ELj8ELj64ELN6hipcub17WarpLoadAlgorithmE2EiEvPT3_S3_,@function
_Z16warp_load_kernelILj256ELj8ELj64ELN6hipcub17WarpLoadAlgorithmE2EiEvPT3_S3_: ; @_Z16warp_load_kernelILj256ELj8ELj64ELN6hipcub17WarpLoadAlgorithmE2EiEvPT3_S3_
; %bb.0:
	s_endpgm
	.section	.rodata,"a",@progbits
	.p2align	6, 0x0
	.amdhsa_kernel _Z16warp_load_kernelILj256ELj8ELj64ELN6hipcub17WarpLoadAlgorithmE2EiEvPT3_S3_
		.amdhsa_group_segment_fixed_size 0
		.amdhsa_private_segment_fixed_size 0
		.amdhsa_kernarg_size 16
		.amdhsa_user_sgpr_count 15
		.amdhsa_user_sgpr_dispatch_ptr 0
		.amdhsa_user_sgpr_queue_ptr 0
		.amdhsa_user_sgpr_kernarg_segment_ptr 1
		.amdhsa_user_sgpr_dispatch_id 0
		.amdhsa_user_sgpr_private_segment_size 0
		.amdhsa_wavefront_size32 1
		.amdhsa_uses_dynamic_stack 0
		.amdhsa_enable_private_segment 0
		.amdhsa_system_sgpr_workgroup_id_x 1
		.amdhsa_system_sgpr_workgroup_id_y 0
		.amdhsa_system_sgpr_workgroup_id_z 0
		.amdhsa_system_sgpr_workgroup_info 0
		.amdhsa_system_vgpr_workitem_id 0
		.amdhsa_next_free_vgpr 1
		.amdhsa_next_free_sgpr 1
		.amdhsa_reserve_vcc 0
		.amdhsa_float_round_mode_32 0
		.amdhsa_float_round_mode_16_64 0
		.amdhsa_float_denorm_mode_32 3
		.amdhsa_float_denorm_mode_16_64 3
		.amdhsa_dx10_clamp 1
		.amdhsa_ieee_mode 1
		.amdhsa_fp16_overflow 0
		.amdhsa_workgroup_processor_mode 1
		.amdhsa_memory_ordered 1
		.amdhsa_forward_progress 0
		.amdhsa_shared_vgpr_count 0
		.amdhsa_exception_fp_ieee_invalid_op 0
		.amdhsa_exception_fp_denorm_src 0
		.amdhsa_exception_fp_ieee_div_zero 0
		.amdhsa_exception_fp_ieee_overflow 0
		.amdhsa_exception_fp_ieee_underflow 0
		.amdhsa_exception_fp_ieee_inexact 0
		.amdhsa_exception_int_div_zero 0
	.end_amdhsa_kernel
	.section	.text._Z16warp_load_kernelILj256ELj8ELj64ELN6hipcub17WarpLoadAlgorithmE2EiEvPT3_S3_,"axG",@progbits,_Z16warp_load_kernelILj256ELj8ELj64ELN6hipcub17WarpLoadAlgorithmE2EiEvPT3_S3_,comdat
.Lfunc_end43:
	.size	_Z16warp_load_kernelILj256ELj8ELj64ELN6hipcub17WarpLoadAlgorithmE2EiEvPT3_S3_, .Lfunc_end43-_Z16warp_load_kernelILj256ELj8ELj64ELN6hipcub17WarpLoadAlgorithmE2EiEvPT3_S3_
                                        ; -- End function
	.section	.AMDGPU.csdata,"",@progbits
; Kernel info:
; codeLenInByte = 4
; NumSgprs: 0
; NumVgprs: 0
; ScratchSize: 0
; MemoryBound: 0
; FloatMode: 240
; IeeeMode: 1
; LDSByteSize: 0 bytes/workgroup (compile time only)
; SGPRBlocks: 0
; VGPRBlocks: 0
; NumSGPRsForWavesPerEU: 1
; NumVGPRsForWavesPerEU: 1
; Occupancy: 16
; WaveLimiterHint : 0
; COMPUTE_PGM_RSRC2:SCRATCH_EN: 0
; COMPUTE_PGM_RSRC2:USER_SGPR: 15
; COMPUTE_PGM_RSRC2:TRAP_HANDLER: 0
; COMPUTE_PGM_RSRC2:TGID_X_EN: 1
; COMPUTE_PGM_RSRC2:TGID_Y_EN: 0
; COMPUTE_PGM_RSRC2:TGID_Z_EN: 0
; COMPUTE_PGM_RSRC2:TIDIG_COMP_CNT: 0
	.section	.text._Z16warp_load_kernelILj256ELj8ELj64ELN6hipcub17WarpLoadAlgorithmE3EiEvPT3_S3_,"axG",@progbits,_Z16warp_load_kernelILj256ELj8ELj64ELN6hipcub17WarpLoadAlgorithmE3EiEvPT3_S3_,comdat
	.protected	_Z16warp_load_kernelILj256ELj8ELj64ELN6hipcub17WarpLoadAlgorithmE3EiEvPT3_S3_ ; -- Begin function _Z16warp_load_kernelILj256ELj8ELj64ELN6hipcub17WarpLoadAlgorithmE3EiEvPT3_S3_
	.globl	_Z16warp_load_kernelILj256ELj8ELj64ELN6hipcub17WarpLoadAlgorithmE3EiEvPT3_S3_
	.p2align	8
	.type	_Z16warp_load_kernelILj256ELj8ELj64ELN6hipcub17WarpLoadAlgorithmE3EiEvPT3_S3_,@function
_Z16warp_load_kernelILj256ELj8ELj64ELN6hipcub17WarpLoadAlgorithmE3EiEvPT3_S3_: ; @_Z16warp_load_kernelILj256ELj8ELj64ELN6hipcub17WarpLoadAlgorithmE3EiEvPT3_S3_
; %bb.0:
	s_endpgm
	.section	.rodata,"a",@progbits
	.p2align	6, 0x0
	.amdhsa_kernel _Z16warp_load_kernelILj256ELj8ELj64ELN6hipcub17WarpLoadAlgorithmE3EiEvPT3_S3_
		.amdhsa_group_segment_fixed_size 0
		.amdhsa_private_segment_fixed_size 0
		.amdhsa_kernarg_size 16
		.amdhsa_user_sgpr_count 15
		.amdhsa_user_sgpr_dispatch_ptr 0
		.amdhsa_user_sgpr_queue_ptr 0
		.amdhsa_user_sgpr_kernarg_segment_ptr 1
		.amdhsa_user_sgpr_dispatch_id 0
		.amdhsa_user_sgpr_private_segment_size 0
		.amdhsa_wavefront_size32 1
		.amdhsa_uses_dynamic_stack 0
		.amdhsa_enable_private_segment 0
		.amdhsa_system_sgpr_workgroup_id_x 1
		.amdhsa_system_sgpr_workgroup_id_y 0
		.amdhsa_system_sgpr_workgroup_id_z 0
		.amdhsa_system_sgpr_workgroup_info 0
		.amdhsa_system_vgpr_workitem_id 0
		.amdhsa_next_free_vgpr 1
		.amdhsa_next_free_sgpr 1
		.amdhsa_reserve_vcc 0
		.amdhsa_float_round_mode_32 0
		.amdhsa_float_round_mode_16_64 0
		.amdhsa_float_denorm_mode_32 3
		.amdhsa_float_denorm_mode_16_64 3
		.amdhsa_dx10_clamp 1
		.amdhsa_ieee_mode 1
		.amdhsa_fp16_overflow 0
		.amdhsa_workgroup_processor_mode 1
		.amdhsa_memory_ordered 1
		.amdhsa_forward_progress 0
		.amdhsa_shared_vgpr_count 0
		.amdhsa_exception_fp_ieee_invalid_op 0
		.amdhsa_exception_fp_denorm_src 0
		.amdhsa_exception_fp_ieee_div_zero 0
		.amdhsa_exception_fp_ieee_overflow 0
		.amdhsa_exception_fp_ieee_underflow 0
		.amdhsa_exception_fp_ieee_inexact 0
		.amdhsa_exception_int_div_zero 0
	.end_amdhsa_kernel
	.section	.text._Z16warp_load_kernelILj256ELj8ELj64ELN6hipcub17WarpLoadAlgorithmE3EiEvPT3_S3_,"axG",@progbits,_Z16warp_load_kernelILj256ELj8ELj64ELN6hipcub17WarpLoadAlgorithmE3EiEvPT3_S3_,comdat
.Lfunc_end44:
	.size	_Z16warp_load_kernelILj256ELj8ELj64ELN6hipcub17WarpLoadAlgorithmE3EiEvPT3_S3_, .Lfunc_end44-_Z16warp_load_kernelILj256ELj8ELj64ELN6hipcub17WarpLoadAlgorithmE3EiEvPT3_S3_
                                        ; -- End function
	.section	.AMDGPU.csdata,"",@progbits
; Kernel info:
; codeLenInByte = 4
; NumSgprs: 0
; NumVgprs: 0
; ScratchSize: 0
; MemoryBound: 0
; FloatMode: 240
; IeeeMode: 1
; LDSByteSize: 0 bytes/workgroup (compile time only)
; SGPRBlocks: 0
; VGPRBlocks: 0
; NumSGPRsForWavesPerEU: 1
; NumVGPRsForWavesPerEU: 1
; Occupancy: 16
; WaveLimiterHint : 0
; COMPUTE_PGM_RSRC2:SCRATCH_EN: 0
; COMPUTE_PGM_RSRC2:USER_SGPR: 15
; COMPUTE_PGM_RSRC2:TRAP_HANDLER: 0
; COMPUTE_PGM_RSRC2:TGID_X_EN: 1
; COMPUTE_PGM_RSRC2:TGID_Y_EN: 0
; COMPUTE_PGM_RSRC2:TGID_Z_EN: 0
; COMPUTE_PGM_RSRC2:TIDIG_COMP_CNT: 0
	.section	.text._Z16warp_load_kernelILj256ELj16ELj64ELN6hipcub17WarpLoadAlgorithmE0EiEvPT3_S3_,"axG",@progbits,_Z16warp_load_kernelILj256ELj16ELj64ELN6hipcub17WarpLoadAlgorithmE0EiEvPT3_S3_,comdat
	.protected	_Z16warp_load_kernelILj256ELj16ELj64ELN6hipcub17WarpLoadAlgorithmE0EiEvPT3_S3_ ; -- Begin function _Z16warp_load_kernelILj256ELj16ELj64ELN6hipcub17WarpLoadAlgorithmE0EiEvPT3_S3_
	.globl	_Z16warp_load_kernelILj256ELj16ELj64ELN6hipcub17WarpLoadAlgorithmE0EiEvPT3_S3_
	.p2align	8
	.type	_Z16warp_load_kernelILj256ELj16ELj64ELN6hipcub17WarpLoadAlgorithmE0EiEvPT3_S3_,@function
_Z16warp_load_kernelILj256ELj16ELj64ELN6hipcub17WarpLoadAlgorithmE0EiEvPT3_S3_: ; @_Z16warp_load_kernelILj256ELj16ELj64ELN6hipcub17WarpLoadAlgorithmE0EiEvPT3_S3_
; %bb.0:
	s_endpgm
	.section	.rodata,"a",@progbits
	.p2align	6, 0x0
	.amdhsa_kernel _Z16warp_load_kernelILj256ELj16ELj64ELN6hipcub17WarpLoadAlgorithmE0EiEvPT3_S3_
		.amdhsa_group_segment_fixed_size 0
		.amdhsa_private_segment_fixed_size 0
		.amdhsa_kernarg_size 16
		.amdhsa_user_sgpr_count 15
		.amdhsa_user_sgpr_dispatch_ptr 0
		.amdhsa_user_sgpr_queue_ptr 0
		.amdhsa_user_sgpr_kernarg_segment_ptr 1
		.amdhsa_user_sgpr_dispatch_id 0
		.amdhsa_user_sgpr_private_segment_size 0
		.amdhsa_wavefront_size32 1
		.amdhsa_uses_dynamic_stack 0
		.amdhsa_enable_private_segment 0
		.amdhsa_system_sgpr_workgroup_id_x 1
		.amdhsa_system_sgpr_workgroup_id_y 0
		.amdhsa_system_sgpr_workgroup_id_z 0
		.amdhsa_system_sgpr_workgroup_info 0
		.amdhsa_system_vgpr_workitem_id 0
		.amdhsa_next_free_vgpr 1
		.amdhsa_next_free_sgpr 1
		.amdhsa_reserve_vcc 0
		.amdhsa_float_round_mode_32 0
		.amdhsa_float_round_mode_16_64 0
		.amdhsa_float_denorm_mode_32 3
		.amdhsa_float_denorm_mode_16_64 3
		.amdhsa_dx10_clamp 1
		.amdhsa_ieee_mode 1
		.amdhsa_fp16_overflow 0
		.amdhsa_workgroup_processor_mode 1
		.amdhsa_memory_ordered 1
		.amdhsa_forward_progress 0
		.amdhsa_shared_vgpr_count 0
		.amdhsa_exception_fp_ieee_invalid_op 0
		.amdhsa_exception_fp_denorm_src 0
		.amdhsa_exception_fp_ieee_div_zero 0
		.amdhsa_exception_fp_ieee_overflow 0
		.amdhsa_exception_fp_ieee_underflow 0
		.amdhsa_exception_fp_ieee_inexact 0
		.amdhsa_exception_int_div_zero 0
	.end_amdhsa_kernel
	.section	.text._Z16warp_load_kernelILj256ELj16ELj64ELN6hipcub17WarpLoadAlgorithmE0EiEvPT3_S3_,"axG",@progbits,_Z16warp_load_kernelILj256ELj16ELj64ELN6hipcub17WarpLoadAlgorithmE0EiEvPT3_S3_,comdat
.Lfunc_end45:
	.size	_Z16warp_load_kernelILj256ELj16ELj64ELN6hipcub17WarpLoadAlgorithmE0EiEvPT3_S3_, .Lfunc_end45-_Z16warp_load_kernelILj256ELj16ELj64ELN6hipcub17WarpLoadAlgorithmE0EiEvPT3_S3_
                                        ; -- End function
	.section	.AMDGPU.csdata,"",@progbits
; Kernel info:
; codeLenInByte = 4
; NumSgprs: 0
; NumVgprs: 0
; ScratchSize: 0
; MemoryBound: 0
; FloatMode: 240
; IeeeMode: 1
; LDSByteSize: 0 bytes/workgroup (compile time only)
; SGPRBlocks: 0
; VGPRBlocks: 0
; NumSGPRsForWavesPerEU: 1
; NumVGPRsForWavesPerEU: 1
; Occupancy: 16
; WaveLimiterHint : 0
; COMPUTE_PGM_RSRC2:SCRATCH_EN: 0
; COMPUTE_PGM_RSRC2:USER_SGPR: 15
; COMPUTE_PGM_RSRC2:TRAP_HANDLER: 0
; COMPUTE_PGM_RSRC2:TGID_X_EN: 1
; COMPUTE_PGM_RSRC2:TGID_Y_EN: 0
; COMPUTE_PGM_RSRC2:TGID_Z_EN: 0
; COMPUTE_PGM_RSRC2:TIDIG_COMP_CNT: 0
	.section	.text._Z16warp_load_kernelILj256ELj16ELj64ELN6hipcub17WarpLoadAlgorithmE1EiEvPT3_S3_,"axG",@progbits,_Z16warp_load_kernelILj256ELj16ELj64ELN6hipcub17WarpLoadAlgorithmE1EiEvPT3_S3_,comdat
	.protected	_Z16warp_load_kernelILj256ELj16ELj64ELN6hipcub17WarpLoadAlgorithmE1EiEvPT3_S3_ ; -- Begin function _Z16warp_load_kernelILj256ELj16ELj64ELN6hipcub17WarpLoadAlgorithmE1EiEvPT3_S3_
	.globl	_Z16warp_load_kernelILj256ELj16ELj64ELN6hipcub17WarpLoadAlgorithmE1EiEvPT3_S3_
	.p2align	8
	.type	_Z16warp_load_kernelILj256ELj16ELj64ELN6hipcub17WarpLoadAlgorithmE1EiEvPT3_S3_,@function
_Z16warp_load_kernelILj256ELj16ELj64ELN6hipcub17WarpLoadAlgorithmE1EiEvPT3_S3_: ; @_Z16warp_load_kernelILj256ELj16ELj64ELN6hipcub17WarpLoadAlgorithmE1EiEvPT3_S3_
; %bb.0:
	s_endpgm
	.section	.rodata,"a",@progbits
	.p2align	6, 0x0
	.amdhsa_kernel _Z16warp_load_kernelILj256ELj16ELj64ELN6hipcub17WarpLoadAlgorithmE1EiEvPT3_S3_
		.amdhsa_group_segment_fixed_size 0
		.amdhsa_private_segment_fixed_size 0
		.amdhsa_kernarg_size 16
		.amdhsa_user_sgpr_count 15
		.amdhsa_user_sgpr_dispatch_ptr 0
		.amdhsa_user_sgpr_queue_ptr 0
		.amdhsa_user_sgpr_kernarg_segment_ptr 1
		.amdhsa_user_sgpr_dispatch_id 0
		.amdhsa_user_sgpr_private_segment_size 0
		.amdhsa_wavefront_size32 1
		.amdhsa_uses_dynamic_stack 0
		.amdhsa_enable_private_segment 0
		.amdhsa_system_sgpr_workgroup_id_x 1
		.amdhsa_system_sgpr_workgroup_id_y 0
		.amdhsa_system_sgpr_workgroup_id_z 0
		.amdhsa_system_sgpr_workgroup_info 0
		.amdhsa_system_vgpr_workitem_id 0
		.amdhsa_next_free_vgpr 1
		.amdhsa_next_free_sgpr 1
		.amdhsa_reserve_vcc 0
		.amdhsa_float_round_mode_32 0
		.amdhsa_float_round_mode_16_64 0
		.amdhsa_float_denorm_mode_32 3
		.amdhsa_float_denorm_mode_16_64 3
		.amdhsa_dx10_clamp 1
		.amdhsa_ieee_mode 1
		.amdhsa_fp16_overflow 0
		.amdhsa_workgroup_processor_mode 1
		.amdhsa_memory_ordered 1
		.amdhsa_forward_progress 0
		.amdhsa_shared_vgpr_count 0
		.amdhsa_exception_fp_ieee_invalid_op 0
		.amdhsa_exception_fp_denorm_src 0
		.amdhsa_exception_fp_ieee_div_zero 0
		.amdhsa_exception_fp_ieee_overflow 0
		.amdhsa_exception_fp_ieee_underflow 0
		.amdhsa_exception_fp_ieee_inexact 0
		.amdhsa_exception_int_div_zero 0
	.end_amdhsa_kernel
	.section	.text._Z16warp_load_kernelILj256ELj16ELj64ELN6hipcub17WarpLoadAlgorithmE1EiEvPT3_S3_,"axG",@progbits,_Z16warp_load_kernelILj256ELj16ELj64ELN6hipcub17WarpLoadAlgorithmE1EiEvPT3_S3_,comdat
.Lfunc_end46:
	.size	_Z16warp_load_kernelILj256ELj16ELj64ELN6hipcub17WarpLoadAlgorithmE1EiEvPT3_S3_, .Lfunc_end46-_Z16warp_load_kernelILj256ELj16ELj64ELN6hipcub17WarpLoadAlgorithmE1EiEvPT3_S3_
                                        ; -- End function
	.section	.AMDGPU.csdata,"",@progbits
; Kernel info:
; codeLenInByte = 4
; NumSgprs: 0
; NumVgprs: 0
; ScratchSize: 0
; MemoryBound: 0
; FloatMode: 240
; IeeeMode: 1
; LDSByteSize: 0 bytes/workgroup (compile time only)
; SGPRBlocks: 0
; VGPRBlocks: 0
; NumSGPRsForWavesPerEU: 1
; NumVGPRsForWavesPerEU: 1
; Occupancy: 16
; WaveLimiterHint : 0
; COMPUTE_PGM_RSRC2:SCRATCH_EN: 0
; COMPUTE_PGM_RSRC2:USER_SGPR: 15
; COMPUTE_PGM_RSRC2:TRAP_HANDLER: 0
; COMPUTE_PGM_RSRC2:TGID_X_EN: 1
; COMPUTE_PGM_RSRC2:TGID_Y_EN: 0
; COMPUTE_PGM_RSRC2:TGID_Z_EN: 0
; COMPUTE_PGM_RSRC2:TIDIG_COMP_CNT: 0
	.section	.text._Z16warp_load_kernelILj256ELj16ELj64ELN6hipcub17WarpLoadAlgorithmE2EiEvPT3_S3_,"axG",@progbits,_Z16warp_load_kernelILj256ELj16ELj64ELN6hipcub17WarpLoadAlgorithmE2EiEvPT3_S3_,comdat
	.protected	_Z16warp_load_kernelILj256ELj16ELj64ELN6hipcub17WarpLoadAlgorithmE2EiEvPT3_S3_ ; -- Begin function _Z16warp_load_kernelILj256ELj16ELj64ELN6hipcub17WarpLoadAlgorithmE2EiEvPT3_S3_
	.globl	_Z16warp_load_kernelILj256ELj16ELj64ELN6hipcub17WarpLoadAlgorithmE2EiEvPT3_S3_
	.p2align	8
	.type	_Z16warp_load_kernelILj256ELj16ELj64ELN6hipcub17WarpLoadAlgorithmE2EiEvPT3_S3_,@function
_Z16warp_load_kernelILj256ELj16ELj64ELN6hipcub17WarpLoadAlgorithmE2EiEvPT3_S3_: ; @_Z16warp_load_kernelILj256ELj16ELj64ELN6hipcub17WarpLoadAlgorithmE2EiEvPT3_S3_
; %bb.0:
	s_endpgm
	.section	.rodata,"a",@progbits
	.p2align	6, 0x0
	.amdhsa_kernel _Z16warp_load_kernelILj256ELj16ELj64ELN6hipcub17WarpLoadAlgorithmE2EiEvPT3_S3_
		.amdhsa_group_segment_fixed_size 0
		.amdhsa_private_segment_fixed_size 0
		.amdhsa_kernarg_size 16
		.amdhsa_user_sgpr_count 15
		.amdhsa_user_sgpr_dispatch_ptr 0
		.amdhsa_user_sgpr_queue_ptr 0
		.amdhsa_user_sgpr_kernarg_segment_ptr 1
		.amdhsa_user_sgpr_dispatch_id 0
		.amdhsa_user_sgpr_private_segment_size 0
		.amdhsa_wavefront_size32 1
		.amdhsa_uses_dynamic_stack 0
		.amdhsa_enable_private_segment 0
		.amdhsa_system_sgpr_workgroup_id_x 1
		.amdhsa_system_sgpr_workgroup_id_y 0
		.amdhsa_system_sgpr_workgroup_id_z 0
		.amdhsa_system_sgpr_workgroup_info 0
		.amdhsa_system_vgpr_workitem_id 0
		.amdhsa_next_free_vgpr 1
		.amdhsa_next_free_sgpr 1
		.amdhsa_reserve_vcc 0
		.amdhsa_float_round_mode_32 0
		.amdhsa_float_round_mode_16_64 0
		.amdhsa_float_denorm_mode_32 3
		.amdhsa_float_denorm_mode_16_64 3
		.amdhsa_dx10_clamp 1
		.amdhsa_ieee_mode 1
		.amdhsa_fp16_overflow 0
		.amdhsa_workgroup_processor_mode 1
		.amdhsa_memory_ordered 1
		.amdhsa_forward_progress 0
		.amdhsa_shared_vgpr_count 0
		.amdhsa_exception_fp_ieee_invalid_op 0
		.amdhsa_exception_fp_denorm_src 0
		.amdhsa_exception_fp_ieee_div_zero 0
		.amdhsa_exception_fp_ieee_overflow 0
		.amdhsa_exception_fp_ieee_underflow 0
		.amdhsa_exception_fp_ieee_inexact 0
		.amdhsa_exception_int_div_zero 0
	.end_amdhsa_kernel
	.section	.text._Z16warp_load_kernelILj256ELj16ELj64ELN6hipcub17WarpLoadAlgorithmE2EiEvPT3_S3_,"axG",@progbits,_Z16warp_load_kernelILj256ELj16ELj64ELN6hipcub17WarpLoadAlgorithmE2EiEvPT3_S3_,comdat
.Lfunc_end47:
	.size	_Z16warp_load_kernelILj256ELj16ELj64ELN6hipcub17WarpLoadAlgorithmE2EiEvPT3_S3_, .Lfunc_end47-_Z16warp_load_kernelILj256ELj16ELj64ELN6hipcub17WarpLoadAlgorithmE2EiEvPT3_S3_
                                        ; -- End function
	.section	.AMDGPU.csdata,"",@progbits
; Kernel info:
; codeLenInByte = 4
; NumSgprs: 0
; NumVgprs: 0
; ScratchSize: 0
; MemoryBound: 0
; FloatMode: 240
; IeeeMode: 1
; LDSByteSize: 0 bytes/workgroup (compile time only)
; SGPRBlocks: 0
; VGPRBlocks: 0
; NumSGPRsForWavesPerEU: 1
; NumVGPRsForWavesPerEU: 1
; Occupancy: 16
; WaveLimiterHint : 0
; COMPUTE_PGM_RSRC2:SCRATCH_EN: 0
; COMPUTE_PGM_RSRC2:USER_SGPR: 15
; COMPUTE_PGM_RSRC2:TRAP_HANDLER: 0
; COMPUTE_PGM_RSRC2:TGID_X_EN: 1
; COMPUTE_PGM_RSRC2:TGID_Y_EN: 0
; COMPUTE_PGM_RSRC2:TGID_Z_EN: 0
; COMPUTE_PGM_RSRC2:TIDIG_COMP_CNT: 0
	.section	.text._Z16warp_load_kernelILj256ELj16ELj64ELN6hipcub17WarpLoadAlgorithmE3EiEvPT3_S3_,"axG",@progbits,_Z16warp_load_kernelILj256ELj16ELj64ELN6hipcub17WarpLoadAlgorithmE3EiEvPT3_S3_,comdat
	.protected	_Z16warp_load_kernelILj256ELj16ELj64ELN6hipcub17WarpLoadAlgorithmE3EiEvPT3_S3_ ; -- Begin function _Z16warp_load_kernelILj256ELj16ELj64ELN6hipcub17WarpLoadAlgorithmE3EiEvPT3_S3_
	.globl	_Z16warp_load_kernelILj256ELj16ELj64ELN6hipcub17WarpLoadAlgorithmE3EiEvPT3_S3_
	.p2align	8
	.type	_Z16warp_load_kernelILj256ELj16ELj64ELN6hipcub17WarpLoadAlgorithmE3EiEvPT3_S3_,@function
_Z16warp_load_kernelILj256ELj16ELj64ELN6hipcub17WarpLoadAlgorithmE3EiEvPT3_S3_: ; @_Z16warp_load_kernelILj256ELj16ELj64ELN6hipcub17WarpLoadAlgorithmE3EiEvPT3_S3_
; %bb.0:
	s_endpgm
	.section	.rodata,"a",@progbits
	.p2align	6, 0x0
	.amdhsa_kernel _Z16warp_load_kernelILj256ELj16ELj64ELN6hipcub17WarpLoadAlgorithmE3EiEvPT3_S3_
		.amdhsa_group_segment_fixed_size 0
		.amdhsa_private_segment_fixed_size 0
		.amdhsa_kernarg_size 16
		.amdhsa_user_sgpr_count 15
		.amdhsa_user_sgpr_dispatch_ptr 0
		.amdhsa_user_sgpr_queue_ptr 0
		.amdhsa_user_sgpr_kernarg_segment_ptr 1
		.amdhsa_user_sgpr_dispatch_id 0
		.amdhsa_user_sgpr_private_segment_size 0
		.amdhsa_wavefront_size32 1
		.amdhsa_uses_dynamic_stack 0
		.amdhsa_enable_private_segment 0
		.amdhsa_system_sgpr_workgroup_id_x 1
		.amdhsa_system_sgpr_workgroup_id_y 0
		.amdhsa_system_sgpr_workgroup_id_z 0
		.amdhsa_system_sgpr_workgroup_info 0
		.amdhsa_system_vgpr_workitem_id 0
		.amdhsa_next_free_vgpr 1
		.amdhsa_next_free_sgpr 1
		.amdhsa_reserve_vcc 0
		.amdhsa_float_round_mode_32 0
		.amdhsa_float_round_mode_16_64 0
		.amdhsa_float_denorm_mode_32 3
		.amdhsa_float_denorm_mode_16_64 3
		.amdhsa_dx10_clamp 1
		.amdhsa_ieee_mode 1
		.amdhsa_fp16_overflow 0
		.amdhsa_workgroup_processor_mode 1
		.amdhsa_memory_ordered 1
		.amdhsa_forward_progress 0
		.amdhsa_shared_vgpr_count 0
		.amdhsa_exception_fp_ieee_invalid_op 0
		.amdhsa_exception_fp_denorm_src 0
		.amdhsa_exception_fp_ieee_div_zero 0
		.amdhsa_exception_fp_ieee_overflow 0
		.amdhsa_exception_fp_ieee_underflow 0
		.amdhsa_exception_fp_ieee_inexact 0
		.amdhsa_exception_int_div_zero 0
	.end_amdhsa_kernel
	.section	.text._Z16warp_load_kernelILj256ELj16ELj64ELN6hipcub17WarpLoadAlgorithmE3EiEvPT3_S3_,"axG",@progbits,_Z16warp_load_kernelILj256ELj16ELj64ELN6hipcub17WarpLoadAlgorithmE3EiEvPT3_S3_,comdat
.Lfunc_end48:
	.size	_Z16warp_load_kernelILj256ELj16ELj64ELN6hipcub17WarpLoadAlgorithmE3EiEvPT3_S3_, .Lfunc_end48-_Z16warp_load_kernelILj256ELj16ELj64ELN6hipcub17WarpLoadAlgorithmE3EiEvPT3_S3_
                                        ; -- End function
	.section	.AMDGPU.csdata,"",@progbits
; Kernel info:
; codeLenInByte = 4
; NumSgprs: 0
; NumVgprs: 0
; ScratchSize: 0
; MemoryBound: 0
; FloatMode: 240
; IeeeMode: 1
; LDSByteSize: 0 bytes/workgroup (compile time only)
; SGPRBlocks: 0
; VGPRBlocks: 0
; NumSGPRsForWavesPerEU: 1
; NumVGPRsForWavesPerEU: 1
; Occupancy: 16
; WaveLimiterHint : 0
; COMPUTE_PGM_RSRC2:SCRATCH_EN: 0
; COMPUTE_PGM_RSRC2:USER_SGPR: 15
; COMPUTE_PGM_RSRC2:TRAP_HANDLER: 0
; COMPUTE_PGM_RSRC2:TGID_X_EN: 1
; COMPUTE_PGM_RSRC2:TGID_Y_EN: 0
; COMPUTE_PGM_RSRC2:TGID_Z_EN: 0
; COMPUTE_PGM_RSRC2:TIDIG_COMP_CNT: 0
	.section	.text._Z16warp_load_kernelILj256ELj32ELj64ELN6hipcub17WarpLoadAlgorithmE0EiEvPT3_S3_,"axG",@progbits,_Z16warp_load_kernelILj256ELj32ELj64ELN6hipcub17WarpLoadAlgorithmE0EiEvPT3_S3_,comdat
	.protected	_Z16warp_load_kernelILj256ELj32ELj64ELN6hipcub17WarpLoadAlgorithmE0EiEvPT3_S3_ ; -- Begin function _Z16warp_load_kernelILj256ELj32ELj64ELN6hipcub17WarpLoadAlgorithmE0EiEvPT3_S3_
	.globl	_Z16warp_load_kernelILj256ELj32ELj64ELN6hipcub17WarpLoadAlgorithmE0EiEvPT3_S3_
	.p2align	8
	.type	_Z16warp_load_kernelILj256ELj32ELj64ELN6hipcub17WarpLoadAlgorithmE0EiEvPT3_S3_,@function
_Z16warp_load_kernelILj256ELj32ELj64ELN6hipcub17WarpLoadAlgorithmE0EiEvPT3_S3_: ; @_Z16warp_load_kernelILj256ELj32ELj64ELN6hipcub17WarpLoadAlgorithmE0EiEvPT3_S3_
; %bb.0:
	s_endpgm
	.section	.rodata,"a",@progbits
	.p2align	6, 0x0
	.amdhsa_kernel _Z16warp_load_kernelILj256ELj32ELj64ELN6hipcub17WarpLoadAlgorithmE0EiEvPT3_S3_
		.amdhsa_group_segment_fixed_size 0
		.amdhsa_private_segment_fixed_size 0
		.amdhsa_kernarg_size 16
		.amdhsa_user_sgpr_count 15
		.amdhsa_user_sgpr_dispatch_ptr 0
		.amdhsa_user_sgpr_queue_ptr 0
		.amdhsa_user_sgpr_kernarg_segment_ptr 1
		.amdhsa_user_sgpr_dispatch_id 0
		.amdhsa_user_sgpr_private_segment_size 0
		.amdhsa_wavefront_size32 1
		.amdhsa_uses_dynamic_stack 0
		.amdhsa_enable_private_segment 0
		.amdhsa_system_sgpr_workgroup_id_x 1
		.amdhsa_system_sgpr_workgroup_id_y 0
		.amdhsa_system_sgpr_workgroup_id_z 0
		.amdhsa_system_sgpr_workgroup_info 0
		.amdhsa_system_vgpr_workitem_id 0
		.amdhsa_next_free_vgpr 1
		.amdhsa_next_free_sgpr 1
		.amdhsa_reserve_vcc 0
		.amdhsa_float_round_mode_32 0
		.amdhsa_float_round_mode_16_64 0
		.amdhsa_float_denorm_mode_32 3
		.amdhsa_float_denorm_mode_16_64 3
		.amdhsa_dx10_clamp 1
		.amdhsa_ieee_mode 1
		.amdhsa_fp16_overflow 0
		.amdhsa_workgroup_processor_mode 1
		.amdhsa_memory_ordered 1
		.amdhsa_forward_progress 0
		.amdhsa_shared_vgpr_count 0
		.amdhsa_exception_fp_ieee_invalid_op 0
		.amdhsa_exception_fp_denorm_src 0
		.amdhsa_exception_fp_ieee_div_zero 0
		.amdhsa_exception_fp_ieee_overflow 0
		.amdhsa_exception_fp_ieee_underflow 0
		.amdhsa_exception_fp_ieee_inexact 0
		.amdhsa_exception_int_div_zero 0
	.end_amdhsa_kernel
	.section	.text._Z16warp_load_kernelILj256ELj32ELj64ELN6hipcub17WarpLoadAlgorithmE0EiEvPT3_S3_,"axG",@progbits,_Z16warp_load_kernelILj256ELj32ELj64ELN6hipcub17WarpLoadAlgorithmE0EiEvPT3_S3_,comdat
.Lfunc_end49:
	.size	_Z16warp_load_kernelILj256ELj32ELj64ELN6hipcub17WarpLoadAlgorithmE0EiEvPT3_S3_, .Lfunc_end49-_Z16warp_load_kernelILj256ELj32ELj64ELN6hipcub17WarpLoadAlgorithmE0EiEvPT3_S3_
                                        ; -- End function
	.section	.AMDGPU.csdata,"",@progbits
; Kernel info:
; codeLenInByte = 4
; NumSgprs: 0
; NumVgprs: 0
; ScratchSize: 0
; MemoryBound: 0
; FloatMode: 240
; IeeeMode: 1
; LDSByteSize: 0 bytes/workgroup (compile time only)
; SGPRBlocks: 0
; VGPRBlocks: 0
; NumSGPRsForWavesPerEU: 1
; NumVGPRsForWavesPerEU: 1
; Occupancy: 16
; WaveLimiterHint : 0
; COMPUTE_PGM_RSRC2:SCRATCH_EN: 0
; COMPUTE_PGM_RSRC2:USER_SGPR: 15
; COMPUTE_PGM_RSRC2:TRAP_HANDLER: 0
; COMPUTE_PGM_RSRC2:TGID_X_EN: 1
; COMPUTE_PGM_RSRC2:TGID_Y_EN: 0
; COMPUTE_PGM_RSRC2:TGID_Z_EN: 0
; COMPUTE_PGM_RSRC2:TIDIG_COMP_CNT: 0
	.section	.text._Z16warp_load_kernelILj256ELj32ELj64ELN6hipcub17WarpLoadAlgorithmE1EiEvPT3_S3_,"axG",@progbits,_Z16warp_load_kernelILj256ELj32ELj64ELN6hipcub17WarpLoadAlgorithmE1EiEvPT3_S3_,comdat
	.protected	_Z16warp_load_kernelILj256ELj32ELj64ELN6hipcub17WarpLoadAlgorithmE1EiEvPT3_S3_ ; -- Begin function _Z16warp_load_kernelILj256ELj32ELj64ELN6hipcub17WarpLoadAlgorithmE1EiEvPT3_S3_
	.globl	_Z16warp_load_kernelILj256ELj32ELj64ELN6hipcub17WarpLoadAlgorithmE1EiEvPT3_S3_
	.p2align	8
	.type	_Z16warp_load_kernelILj256ELj32ELj64ELN6hipcub17WarpLoadAlgorithmE1EiEvPT3_S3_,@function
_Z16warp_load_kernelILj256ELj32ELj64ELN6hipcub17WarpLoadAlgorithmE1EiEvPT3_S3_: ; @_Z16warp_load_kernelILj256ELj32ELj64ELN6hipcub17WarpLoadAlgorithmE1EiEvPT3_S3_
; %bb.0:
	s_endpgm
	.section	.rodata,"a",@progbits
	.p2align	6, 0x0
	.amdhsa_kernel _Z16warp_load_kernelILj256ELj32ELj64ELN6hipcub17WarpLoadAlgorithmE1EiEvPT3_S3_
		.amdhsa_group_segment_fixed_size 0
		.amdhsa_private_segment_fixed_size 0
		.amdhsa_kernarg_size 16
		.amdhsa_user_sgpr_count 15
		.amdhsa_user_sgpr_dispatch_ptr 0
		.amdhsa_user_sgpr_queue_ptr 0
		.amdhsa_user_sgpr_kernarg_segment_ptr 1
		.amdhsa_user_sgpr_dispatch_id 0
		.amdhsa_user_sgpr_private_segment_size 0
		.amdhsa_wavefront_size32 1
		.amdhsa_uses_dynamic_stack 0
		.amdhsa_enable_private_segment 0
		.amdhsa_system_sgpr_workgroup_id_x 1
		.amdhsa_system_sgpr_workgroup_id_y 0
		.amdhsa_system_sgpr_workgroup_id_z 0
		.amdhsa_system_sgpr_workgroup_info 0
		.amdhsa_system_vgpr_workitem_id 0
		.amdhsa_next_free_vgpr 1
		.amdhsa_next_free_sgpr 1
		.amdhsa_reserve_vcc 0
		.amdhsa_float_round_mode_32 0
		.amdhsa_float_round_mode_16_64 0
		.amdhsa_float_denorm_mode_32 3
		.amdhsa_float_denorm_mode_16_64 3
		.amdhsa_dx10_clamp 1
		.amdhsa_ieee_mode 1
		.amdhsa_fp16_overflow 0
		.amdhsa_workgroup_processor_mode 1
		.amdhsa_memory_ordered 1
		.amdhsa_forward_progress 0
		.amdhsa_shared_vgpr_count 0
		.amdhsa_exception_fp_ieee_invalid_op 0
		.amdhsa_exception_fp_denorm_src 0
		.amdhsa_exception_fp_ieee_div_zero 0
		.amdhsa_exception_fp_ieee_overflow 0
		.amdhsa_exception_fp_ieee_underflow 0
		.amdhsa_exception_fp_ieee_inexact 0
		.amdhsa_exception_int_div_zero 0
	.end_amdhsa_kernel
	.section	.text._Z16warp_load_kernelILj256ELj32ELj64ELN6hipcub17WarpLoadAlgorithmE1EiEvPT3_S3_,"axG",@progbits,_Z16warp_load_kernelILj256ELj32ELj64ELN6hipcub17WarpLoadAlgorithmE1EiEvPT3_S3_,comdat
.Lfunc_end50:
	.size	_Z16warp_load_kernelILj256ELj32ELj64ELN6hipcub17WarpLoadAlgorithmE1EiEvPT3_S3_, .Lfunc_end50-_Z16warp_load_kernelILj256ELj32ELj64ELN6hipcub17WarpLoadAlgorithmE1EiEvPT3_S3_
                                        ; -- End function
	.section	.AMDGPU.csdata,"",@progbits
; Kernel info:
; codeLenInByte = 4
; NumSgprs: 0
; NumVgprs: 0
; ScratchSize: 0
; MemoryBound: 0
; FloatMode: 240
; IeeeMode: 1
; LDSByteSize: 0 bytes/workgroup (compile time only)
; SGPRBlocks: 0
; VGPRBlocks: 0
; NumSGPRsForWavesPerEU: 1
; NumVGPRsForWavesPerEU: 1
; Occupancy: 16
; WaveLimiterHint : 0
; COMPUTE_PGM_RSRC2:SCRATCH_EN: 0
; COMPUTE_PGM_RSRC2:USER_SGPR: 15
; COMPUTE_PGM_RSRC2:TRAP_HANDLER: 0
; COMPUTE_PGM_RSRC2:TGID_X_EN: 1
; COMPUTE_PGM_RSRC2:TGID_Y_EN: 0
; COMPUTE_PGM_RSRC2:TGID_Z_EN: 0
; COMPUTE_PGM_RSRC2:TIDIG_COMP_CNT: 0
	.section	.text._Z16warp_load_kernelILj256ELj32ELj64ELN6hipcub17WarpLoadAlgorithmE2EiEvPT3_S3_,"axG",@progbits,_Z16warp_load_kernelILj256ELj32ELj64ELN6hipcub17WarpLoadAlgorithmE2EiEvPT3_S3_,comdat
	.protected	_Z16warp_load_kernelILj256ELj32ELj64ELN6hipcub17WarpLoadAlgorithmE2EiEvPT3_S3_ ; -- Begin function _Z16warp_load_kernelILj256ELj32ELj64ELN6hipcub17WarpLoadAlgorithmE2EiEvPT3_S3_
	.globl	_Z16warp_load_kernelILj256ELj32ELj64ELN6hipcub17WarpLoadAlgorithmE2EiEvPT3_S3_
	.p2align	8
	.type	_Z16warp_load_kernelILj256ELj32ELj64ELN6hipcub17WarpLoadAlgorithmE2EiEvPT3_S3_,@function
_Z16warp_load_kernelILj256ELj32ELj64ELN6hipcub17WarpLoadAlgorithmE2EiEvPT3_S3_: ; @_Z16warp_load_kernelILj256ELj32ELj64ELN6hipcub17WarpLoadAlgorithmE2EiEvPT3_S3_
; %bb.0:
	s_endpgm
	.section	.rodata,"a",@progbits
	.p2align	6, 0x0
	.amdhsa_kernel _Z16warp_load_kernelILj256ELj32ELj64ELN6hipcub17WarpLoadAlgorithmE2EiEvPT3_S3_
		.amdhsa_group_segment_fixed_size 0
		.amdhsa_private_segment_fixed_size 0
		.amdhsa_kernarg_size 16
		.amdhsa_user_sgpr_count 15
		.amdhsa_user_sgpr_dispatch_ptr 0
		.amdhsa_user_sgpr_queue_ptr 0
		.amdhsa_user_sgpr_kernarg_segment_ptr 1
		.amdhsa_user_sgpr_dispatch_id 0
		.amdhsa_user_sgpr_private_segment_size 0
		.amdhsa_wavefront_size32 1
		.amdhsa_uses_dynamic_stack 0
		.amdhsa_enable_private_segment 0
		.amdhsa_system_sgpr_workgroup_id_x 1
		.amdhsa_system_sgpr_workgroup_id_y 0
		.amdhsa_system_sgpr_workgroup_id_z 0
		.amdhsa_system_sgpr_workgroup_info 0
		.amdhsa_system_vgpr_workitem_id 0
		.amdhsa_next_free_vgpr 1
		.amdhsa_next_free_sgpr 1
		.amdhsa_reserve_vcc 0
		.amdhsa_float_round_mode_32 0
		.amdhsa_float_round_mode_16_64 0
		.amdhsa_float_denorm_mode_32 3
		.amdhsa_float_denorm_mode_16_64 3
		.amdhsa_dx10_clamp 1
		.amdhsa_ieee_mode 1
		.amdhsa_fp16_overflow 0
		.amdhsa_workgroup_processor_mode 1
		.amdhsa_memory_ordered 1
		.amdhsa_forward_progress 0
		.amdhsa_shared_vgpr_count 0
		.amdhsa_exception_fp_ieee_invalid_op 0
		.amdhsa_exception_fp_denorm_src 0
		.amdhsa_exception_fp_ieee_div_zero 0
		.amdhsa_exception_fp_ieee_overflow 0
		.amdhsa_exception_fp_ieee_underflow 0
		.amdhsa_exception_fp_ieee_inexact 0
		.amdhsa_exception_int_div_zero 0
	.end_amdhsa_kernel
	.section	.text._Z16warp_load_kernelILj256ELj32ELj64ELN6hipcub17WarpLoadAlgorithmE2EiEvPT3_S3_,"axG",@progbits,_Z16warp_load_kernelILj256ELj32ELj64ELN6hipcub17WarpLoadAlgorithmE2EiEvPT3_S3_,comdat
.Lfunc_end51:
	.size	_Z16warp_load_kernelILj256ELj32ELj64ELN6hipcub17WarpLoadAlgorithmE2EiEvPT3_S3_, .Lfunc_end51-_Z16warp_load_kernelILj256ELj32ELj64ELN6hipcub17WarpLoadAlgorithmE2EiEvPT3_S3_
                                        ; -- End function
	.section	.AMDGPU.csdata,"",@progbits
; Kernel info:
; codeLenInByte = 4
; NumSgprs: 0
; NumVgprs: 0
; ScratchSize: 0
; MemoryBound: 0
; FloatMode: 240
; IeeeMode: 1
; LDSByteSize: 0 bytes/workgroup (compile time only)
; SGPRBlocks: 0
; VGPRBlocks: 0
; NumSGPRsForWavesPerEU: 1
; NumVGPRsForWavesPerEU: 1
; Occupancy: 16
; WaveLimiterHint : 0
; COMPUTE_PGM_RSRC2:SCRATCH_EN: 0
; COMPUTE_PGM_RSRC2:USER_SGPR: 15
; COMPUTE_PGM_RSRC2:TRAP_HANDLER: 0
; COMPUTE_PGM_RSRC2:TGID_X_EN: 1
; COMPUTE_PGM_RSRC2:TGID_Y_EN: 0
; COMPUTE_PGM_RSRC2:TGID_Z_EN: 0
; COMPUTE_PGM_RSRC2:TIDIG_COMP_CNT: 0
	.section	.text._Z16warp_load_kernelILj256ELj32ELj64ELN6hipcub17WarpLoadAlgorithmE3EiEvPT3_S3_,"axG",@progbits,_Z16warp_load_kernelILj256ELj32ELj64ELN6hipcub17WarpLoadAlgorithmE3EiEvPT3_S3_,comdat
	.protected	_Z16warp_load_kernelILj256ELj32ELj64ELN6hipcub17WarpLoadAlgorithmE3EiEvPT3_S3_ ; -- Begin function _Z16warp_load_kernelILj256ELj32ELj64ELN6hipcub17WarpLoadAlgorithmE3EiEvPT3_S3_
	.globl	_Z16warp_load_kernelILj256ELj32ELj64ELN6hipcub17WarpLoadAlgorithmE3EiEvPT3_S3_
	.p2align	8
	.type	_Z16warp_load_kernelILj256ELj32ELj64ELN6hipcub17WarpLoadAlgorithmE3EiEvPT3_S3_,@function
_Z16warp_load_kernelILj256ELj32ELj64ELN6hipcub17WarpLoadAlgorithmE3EiEvPT3_S3_: ; @_Z16warp_load_kernelILj256ELj32ELj64ELN6hipcub17WarpLoadAlgorithmE3EiEvPT3_S3_
; %bb.0:
	s_endpgm
	.section	.rodata,"a",@progbits
	.p2align	6, 0x0
	.amdhsa_kernel _Z16warp_load_kernelILj256ELj32ELj64ELN6hipcub17WarpLoadAlgorithmE3EiEvPT3_S3_
		.amdhsa_group_segment_fixed_size 0
		.amdhsa_private_segment_fixed_size 0
		.amdhsa_kernarg_size 16
		.amdhsa_user_sgpr_count 15
		.amdhsa_user_sgpr_dispatch_ptr 0
		.amdhsa_user_sgpr_queue_ptr 0
		.amdhsa_user_sgpr_kernarg_segment_ptr 1
		.amdhsa_user_sgpr_dispatch_id 0
		.amdhsa_user_sgpr_private_segment_size 0
		.amdhsa_wavefront_size32 1
		.amdhsa_uses_dynamic_stack 0
		.amdhsa_enable_private_segment 0
		.amdhsa_system_sgpr_workgroup_id_x 1
		.amdhsa_system_sgpr_workgroup_id_y 0
		.amdhsa_system_sgpr_workgroup_id_z 0
		.amdhsa_system_sgpr_workgroup_info 0
		.amdhsa_system_vgpr_workitem_id 0
		.amdhsa_next_free_vgpr 1
		.amdhsa_next_free_sgpr 1
		.amdhsa_reserve_vcc 0
		.amdhsa_float_round_mode_32 0
		.amdhsa_float_round_mode_16_64 0
		.amdhsa_float_denorm_mode_32 3
		.amdhsa_float_denorm_mode_16_64 3
		.amdhsa_dx10_clamp 1
		.amdhsa_ieee_mode 1
		.amdhsa_fp16_overflow 0
		.amdhsa_workgroup_processor_mode 1
		.amdhsa_memory_ordered 1
		.amdhsa_forward_progress 0
		.amdhsa_shared_vgpr_count 0
		.amdhsa_exception_fp_ieee_invalid_op 0
		.amdhsa_exception_fp_denorm_src 0
		.amdhsa_exception_fp_ieee_div_zero 0
		.amdhsa_exception_fp_ieee_overflow 0
		.amdhsa_exception_fp_ieee_underflow 0
		.amdhsa_exception_fp_ieee_inexact 0
		.amdhsa_exception_int_div_zero 0
	.end_amdhsa_kernel
	.section	.text._Z16warp_load_kernelILj256ELj32ELj64ELN6hipcub17WarpLoadAlgorithmE3EiEvPT3_S3_,"axG",@progbits,_Z16warp_load_kernelILj256ELj32ELj64ELN6hipcub17WarpLoadAlgorithmE3EiEvPT3_S3_,comdat
.Lfunc_end52:
	.size	_Z16warp_load_kernelILj256ELj32ELj64ELN6hipcub17WarpLoadAlgorithmE3EiEvPT3_S3_, .Lfunc_end52-_Z16warp_load_kernelILj256ELj32ELj64ELN6hipcub17WarpLoadAlgorithmE3EiEvPT3_S3_
                                        ; -- End function
	.section	.AMDGPU.csdata,"",@progbits
; Kernel info:
; codeLenInByte = 4
; NumSgprs: 0
; NumVgprs: 0
; ScratchSize: 0
; MemoryBound: 0
; FloatMode: 240
; IeeeMode: 1
; LDSByteSize: 0 bytes/workgroup (compile time only)
; SGPRBlocks: 0
; VGPRBlocks: 0
; NumSGPRsForWavesPerEU: 1
; NumVGPRsForWavesPerEU: 1
; Occupancy: 16
; WaveLimiterHint : 0
; COMPUTE_PGM_RSRC2:SCRATCH_EN: 0
; COMPUTE_PGM_RSRC2:USER_SGPR: 15
; COMPUTE_PGM_RSRC2:TRAP_HANDLER: 0
; COMPUTE_PGM_RSRC2:TGID_X_EN: 1
; COMPUTE_PGM_RSRC2:TGID_Y_EN: 0
; COMPUTE_PGM_RSRC2:TGID_Z_EN: 0
; COMPUTE_PGM_RSRC2:TIDIG_COMP_CNT: 0
	.section	.text._Z16warp_load_kernelILj256ELj64ELj64ELN6hipcub17WarpLoadAlgorithmE0EiEvPT3_S3_,"axG",@progbits,_Z16warp_load_kernelILj256ELj64ELj64ELN6hipcub17WarpLoadAlgorithmE0EiEvPT3_S3_,comdat
	.protected	_Z16warp_load_kernelILj256ELj64ELj64ELN6hipcub17WarpLoadAlgorithmE0EiEvPT3_S3_ ; -- Begin function _Z16warp_load_kernelILj256ELj64ELj64ELN6hipcub17WarpLoadAlgorithmE0EiEvPT3_S3_
	.globl	_Z16warp_load_kernelILj256ELj64ELj64ELN6hipcub17WarpLoadAlgorithmE0EiEvPT3_S3_
	.p2align	8
	.type	_Z16warp_load_kernelILj256ELj64ELj64ELN6hipcub17WarpLoadAlgorithmE0EiEvPT3_S3_,@function
_Z16warp_load_kernelILj256ELj64ELj64ELN6hipcub17WarpLoadAlgorithmE0EiEvPT3_S3_: ; @_Z16warp_load_kernelILj256ELj64ELj64ELN6hipcub17WarpLoadAlgorithmE0EiEvPT3_S3_
; %bb.0:
	s_endpgm
	.section	.rodata,"a",@progbits
	.p2align	6, 0x0
	.amdhsa_kernel _Z16warp_load_kernelILj256ELj64ELj64ELN6hipcub17WarpLoadAlgorithmE0EiEvPT3_S3_
		.amdhsa_group_segment_fixed_size 0
		.amdhsa_private_segment_fixed_size 0
		.amdhsa_kernarg_size 16
		.amdhsa_user_sgpr_count 15
		.amdhsa_user_sgpr_dispatch_ptr 0
		.amdhsa_user_sgpr_queue_ptr 0
		.amdhsa_user_sgpr_kernarg_segment_ptr 1
		.amdhsa_user_sgpr_dispatch_id 0
		.amdhsa_user_sgpr_private_segment_size 0
		.amdhsa_wavefront_size32 1
		.amdhsa_uses_dynamic_stack 0
		.amdhsa_enable_private_segment 0
		.amdhsa_system_sgpr_workgroup_id_x 1
		.amdhsa_system_sgpr_workgroup_id_y 0
		.amdhsa_system_sgpr_workgroup_id_z 0
		.amdhsa_system_sgpr_workgroup_info 0
		.amdhsa_system_vgpr_workitem_id 0
		.amdhsa_next_free_vgpr 1
		.amdhsa_next_free_sgpr 1
		.amdhsa_reserve_vcc 0
		.amdhsa_float_round_mode_32 0
		.amdhsa_float_round_mode_16_64 0
		.amdhsa_float_denorm_mode_32 3
		.amdhsa_float_denorm_mode_16_64 3
		.amdhsa_dx10_clamp 1
		.amdhsa_ieee_mode 1
		.amdhsa_fp16_overflow 0
		.amdhsa_workgroup_processor_mode 1
		.amdhsa_memory_ordered 1
		.amdhsa_forward_progress 0
		.amdhsa_shared_vgpr_count 0
		.amdhsa_exception_fp_ieee_invalid_op 0
		.amdhsa_exception_fp_denorm_src 0
		.amdhsa_exception_fp_ieee_div_zero 0
		.amdhsa_exception_fp_ieee_overflow 0
		.amdhsa_exception_fp_ieee_underflow 0
		.amdhsa_exception_fp_ieee_inexact 0
		.amdhsa_exception_int_div_zero 0
	.end_amdhsa_kernel
	.section	.text._Z16warp_load_kernelILj256ELj64ELj64ELN6hipcub17WarpLoadAlgorithmE0EiEvPT3_S3_,"axG",@progbits,_Z16warp_load_kernelILj256ELj64ELj64ELN6hipcub17WarpLoadAlgorithmE0EiEvPT3_S3_,comdat
.Lfunc_end53:
	.size	_Z16warp_load_kernelILj256ELj64ELj64ELN6hipcub17WarpLoadAlgorithmE0EiEvPT3_S3_, .Lfunc_end53-_Z16warp_load_kernelILj256ELj64ELj64ELN6hipcub17WarpLoadAlgorithmE0EiEvPT3_S3_
                                        ; -- End function
	.section	.AMDGPU.csdata,"",@progbits
; Kernel info:
; codeLenInByte = 4
; NumSgprs: 0
; NumVgprs: 0
; ScratchSize: 0
; MemoryBound: 0
; FloatMode: 240
; IeeeMode: 1
; LDSByteSize: 0 bytes/workgroup (compile time only)
; SGPRBlocks: 0
; VGPRBlocks: 0
; NumSGPRsForWavesPerEU: 1
; NumVGPRsForWavesPerEU: 1
; Occupancy: 16
; WaveLimiterHint : 0
; COMPUTE_PGM_RSRC2:SCRATCH_EN: 0
; COMPUTE_PGM_RSRC2:USER_SGPR: 15
; COMPUTE_PGM_RSRC2:TRAP_HANDLER: 0
; COMPUTE_PGM_RSRC2:TGID_X_EN: 1
; COMPUTE_PGM_RSRC2:TGID_Y_EN: 0
; COMPUTE_PGM_RSRC2:TGID_Z_EN: 0
; COMPUTE_PGM_RSRC2:TIDIG_COMP_CNT: 0
	.section	.text._Z16warp_load_kernelILj256ELj64ELj64ELN6hipcub17WarpLoadAlgorithmE1EiEvPT3_S3_,"axG",@progbits,_Z16warp_load_kernelILj256ELj64ELj64ELN6hipcub17WarpLoadAlgorithmE1EiEvPT3_S3_,comdat
	.protected	_Z16warp_load_kernelILj256ELj64ELj64ELN6hipcub17WarpLoadAlgorithmE1EiEvPT3_S3_ ; -- Begin function _Z16warp_load_kernelILj256ELj64ELj64ELN6hipcub17WarpLoadAlgorithmE1EiEvPT3_S3_
	.globl	_Z16warp_load_kernelILj256ELj64ELj64ELN6hipcub17WarpLoadAlgorithmE1EiEvPT3_S3_
	.p2align	8
	.type	_Z16warp_load_kernelILj256ELj64ELj64ELN6hipcub17WarpLoadAlgorithmE1EiEvPT3_S3_,@function
_Z16warp_load_kernelILj256ELj64ELj64ELN6hipcub17WarpLoadAlgorithmE1EiEvPT3_S3_: ; @_Z16warp_load_kernelILj256ELj64ELj64ELN6hipcub17WarpLoadAlgorithmE1EiEvPT3_S3_
; %bb.0:
	s_endpgm
	.section	.rodata,"a",@progbits
	.p2align	6, 0x0
	.amdhsa_kernel _Z16warp_load_kernelILj256ELj64ELj64ELN6hipcub17WarpLoadAlgorithmE1EiEvPT3_S3_
		.amdhsa_group_segment_fixed_size 0
		.amdhsa_private_segment_fixed_size 0
		.amdhsa_kernarg_size 16
		.amdhsa_user_sgpr_count 15
		.amdhsa_user_sgpr_dispatch_ptr 0
		.amdhsa_user_sgpr_queue_ptr 0
		.amdhsa_user_sgpr_kernarg_segment_ptr 1
		.amdhsa_user_sgpr_dispatch_id 0
		.amdhsa_user_sgpr_private_segment_size 0
		.amdhsa_wavefront_size32 1
		.amdhsa_uses_dynamic_stack 0
		.amdhsa_enable_private_segment 0
		.amdhsa_system_sgpr_workgroup_id_x 1
		.amdhsa_system_sgpr_workgroup_id_y 0
		.amdhsa_system_sgpr_workgroup_id_z 0
		.amdhsa_system_sgpr_workgroup_info 0
		.amdhsa_system_vgpr_workitem_id 0
		.amdhsa_next_free_vgpr 1
		.amdhsa_next_free_sgpr 1
		.amdhsa_reserve_vcc 0
		.amdhsa_float_round_mode_32 0
		.amdhsa_float_round_mode_16_64 0
		.amdhsa_float_denorm_mode_32 3
		.amdhsa_float_denorm_mode_16_64 3
		.amdhsa_dx10_clamp 1
		.amdhsa_ieee_mode 1
		.amdhsa_fp16_overflow 0
		.amdhsa_workgroup_processor_mode 1
		.amdhsa_memory_ordered 1
		.amdhsa_forward_progress 0
		.amdhsa_shared_vgpr_count 0
		.amdhsa_exception_fp_ieee_invalid_op 0
		.amdhsa_exception_fp_denorm_src 0
		.amdhsa_exception_fp_ieee_div_zero 0
		.amdhsa_exception_fp_ieee_overflow 0
		.amdhsa_exception_fp_ieee_underflow 0
		.amdhsa_exception_fp_ieee_inexact 0
		.amdhsa_exception_int_div_zero 0
	.end_amdhsa_kernel
	.section	.text._Z16warp_load_kernelILj256ELj64ELj64ELN6hipcub17WarpLoadAlgorithmE1EiEvPT3_S3_,"axG",@progbits,_Z16warp_load_kernelILj256ELj64ELj64ELN6hipcub17WarpLoadAlgorithmE1EiEvPT3_S3_,comdat
.Lfunc_end54:
	.size	_Z16warp_load_kernelILj256ELj64ELj64ELN6hipcub17WarpLoadAlgorithmE1EiEvPT3_S3_, .Lfunc_end54-_Z16warp_load_kernelILj256ELj64ELj64ELN6hipcub17WarpLoadAlgorithmE1EiEvPT3_S3_
                                        ; -- End function
	.section	.AMDGPU.csdata,"",@progbits
; Kernel info:
; codeLenInByte = 4
; NumSgprs: 0
; NumVgprs: 0
; ScratchSize: 0
; MemoryBound: 0
; FloatMode: 240
; IeeeMode: 1
; LDSByteSize: 0 bytes/workgroup (compile time only)
; SGPRBlocks: 0
; VGPRBlocks: 0
; NumSGPRsForWavesPerEU: 1
; NumVGPRsForWavesPerEU: 1
; Occupancy: 16
; WaveLimiterHint : 0
; COMPUTE_PGM_RSRC2:SCRATCH_EN: 0
; COMPUTE_PGM_RSRC2:USER_SGPR: 15
; COMPUTE_PGM_RSRC2:TRAP_HANDLER: 0
; COMPUTE_PGM_RSRC2:TGID_X_EN: 1
; COMPUTE_PGM_RSRC2:TGID_Y_EN: 0
; COMPUTE_PGM_RSRC2:TGID_Z_EN: 0
; COMPUTE_PGM_RSRC2:TIDIG_COMP_CNT: 0
	.section	.text._Z16warp_load_kernelILj256ELj64ELj64ELN6hipcub17WarpLoadAlgorithmE2EiEvPT3_S3_,"axG",@progbits,_Z16warp_load_kernelILj256ELj64ELj64ELN6hipcub17WarpLoadAlgorithmE2EiEvPT3_S3_,comdat
	.protected	_Z16warp_load_kernelILj256ELj64ELj64ELN6hipcub17WarpLoadAlgorithmE2EiEvPT3_S3_ ; -- Begin function _Z16warp_load_kernelILj256ELj64ELj64ELN6hipcub17WarpLoadAlgorithmE2EiEvPT3_S3_
	.globl	_Z16warp_load_kernelILj256ELj64ELj64ELN6hipcub17WarpLoadAlgorithmE2EiEvPT3_S3_
	.p2align	8
	.type	_Z16warp_load_kernelILj256ELj64ELj64ELN6hipcub17WarpLoadAlgorithmE2EiEvPT3_S3_,@function
_Z16warp_load_kernelILj256ELj64ELj64ELN6hipcub17WarpLoadAlgorithmE2EiEvPT3_S3_: ; @_Z16warp_load_kernelILj256ELj64ELj64ELN6hipcub17WarpLoadAlgorithmE2EiEvPT3_S3_
; %bb.0:
	s_endpgm
	.section	.rodata,"a",@progbits
	.p2align	6, 0x0
	.amdhsa_kernel _Z16warp_load_kernelILj256ELj64ELj64ELN6hipcub17WarpLoadAlgorithmE2EiEvPT3_S3_
		.amdhsa_group_segment_fixed_size 0
		.amdhsa_private_segment_fixed_size 0
		.amdhsa_kernarg_size 16
		.amdhsa_user_sgpr_count 15
		.amdhsa_user_sgpr_dispatch_ptr 0
		.amdhsa_user_sgpr_queue_ptr 0
		.amdhsa_user_sgpr_kernarg_segment_ptr 1
		.amdhsa_user_sgpr_dispatch_id 0
		.amdhsa_user_sgpr_private_segment_size 0
		.amdhsa_wavefront_size32 1
		.amdhsa_uses_dynamic_stack 0
		.amdhsa_enable_private_segment 0
		.amdhsa_system_sgpr_workgroup_id_x 1
		.amdhsa_system_sgpr_workgroup_id_y 0
		.amdhsa_system_sgpr_workgroup_id_z 0
		.amdhsa_system_sgpr_workgroup_info 0
		.amdhsa_system_vgpr_workitem_id 0
		.amdhsa_next_free_vgpr 1
		.amdhsa_next_free_sgpr 1
		.amdhsa_reserve_vcc 0
		.amdhsa_float_round_mode_32 0
		.amdhsa_float_round_mode_16_64 0
		.amdhsa_float_denorm_mode_32 3
		.amdhsa_float_denorm_mode_16_64 3
		.amdhsa_dx10_clamp 1
		.amdhsa_ieee_mode 1
		.amdhsa_fp16_overflow 0
		.amdhsa_workgroup_processor_mode 1
		.amdhsa_memory_ordered 1
		.amdhsa_forward_progress 0
		.amdhsa_shared_vgpr_count 0
		.amdhsa_exception_fp_ieee_invalid_op 0
		.amdhsa_exception_fp_denorm_src 0
		.amdhsa_exception_fp_ieee_div_zero 0
		.amdhsa_exception_fp_ieee_overflow 0
		.amdhsa_exception_fp_ieee_underflow 0
		.amdhsa_exception_fp_ieee_inexact 0
		.amdhsa_exception_int_div_zero 0
	.end_amdhsa_kernel
	.section	.text._Z16warp_load_kernelILj256ELj64ELj64ELN6hipcub17WarpLoadAlgorithmE2EiEvPT3_S3_,"axG",@progbits,_Z16warp_load_kernelILj256ELj64ELj64ELN6hipcub17WarpLoadAlgorithmE2EiEvPT3_S3_,comdat
.Lfunc_end55:
	.size	_Z16warp_load_kernelILj256ELj64ELj64ELN6hipcub17WarpLoadAlgorithmE2EiEvPT3_S3_, .Lfunc_end55-_Z16warp_load_kernelILj256ELj64ELj64ELN6hipcub17WarpLoadAlgorithmE2EiEvPT3_S3_
                                        ; -- End function
	.section	.AMDGPU.csdata,"",@progbits
; Kernel info:
; codeLenInByte = 4
; NumSgprs: 0
; NumVgprs: 0
; ScratchSize: 0
; MemoryBound: 0
; FloatMode: 240
; IeeeMode: 1
; LDSByteSize: 0 bytes/workgroup (compile time only)
; SGPRBlocks: 0
; VGPRBlocks: 0
; NumSGPRsForWavesPerEU: 1
; NumVGPRsForWavesPerEU: 1
; Occupancy: 16
; WaveLimiterHint : 0
; COMPUTE_PGM_RSRC2:SCRATCH_EN: 0
; COMPUTE_PGM_RSRC2:USER_SGPR: 15
; COMPUTE_PGM_RSRC2:TRAP_HANDLER: 0
; COMPUTE_PGM_RSRC2:TGID_X_EN: 1
; COMPUTE_PGM_RSRC2:TGID_Y_EN: 0
; COMPUTE_PGM_RSRC2:TGID_Z_EN: 0
; COMPUTE_PGM_RSRC2:TIDIG_COMP_CNT: 0
	.section	.text._Z16warp_load_kernelILj256ELj4ELj64ELN6hipcub17WarpLoadAlgorithmE0EdEvPT3_S3_,"axG",@progbits,_Z16warp_load_kernelILj256ELj4ELj64ELN6hipcub17WarpLoadAlgorithmE0EdEvPT3_S3_,comdat
	.protected	_Z16warp_load_kernelILj256ELj4ELj64ELN6hipcub17WarpLoadAlgorithmE0EdEvPT3_S3_ ; -- Begin function _Z16warp_load_kernelILj256ELj4ELj64ELN6hipcub17WarpLoadAlgorithmE0EdEvPT3_S3_
	.globl	_Z16warp_load_kernelILj256ELj4ELj64ELN6hipcub17WarpLoadAlgorithmE0EdEvPT3_S3_
	.p2align	8
	.type	_Z16warp_load_kernelILj256ELj4ELj64ELN6hipcub17WarpLoadAlgorithmE0EdEvPT3_S3_,@function
_Z16warp_load_kernelILj256ELj4ELj64ELN6hipcub17WarpLoadAlgorithmE0EdEvPT3_S3_: ; @_Z16warp_load_kernelILj256ELj4ELj64ELN6hipcub17WarpLoadAlgorithmE0EdEvPT3_S3_
; %bb.0:
	s_endpgm
	.section	.rodata,"a",@progbits
	.p2align	6, 0x0
	.amdhsa_kernel _Z16warp_load_kernelILj256ELj4ELj64ELN6hipcub17WarpLoadAlgorithmE0EdEvPT3_S3_
		.amdhsa_group_segment_fixed_size 0
		.amdhsa_private_segment_fixed_size 0
		.amdhsa_kernarg_size 16
		.amdhsa_user_sgpr_count 15
		.amdhsa_user_sgpr_dispatch_ptr 0
		.amdhsa_user_sgpr_queue_ptr 0
		.amdhsa_user_sgpr_kernarg_segment_ptr 1
		.amdhsa_user_sgpr_dispatch_id 0
		.amdhsa_user_sgpr_private_segment_size 0
		.amdhsa_wavefront_size32 1
		.amdhsa_uses_dynamic_stack 0
		.amdhsa_enable_private_segment 0
		.amdhsa_system_sgpr_workgroup_id_x 1
		.amdhsa_system_sgpr_workgroup_id_y 0
		.amdhsa_system_sgpr_workgroup_id_z 0
		.amdhsa_system_sgpr_workgroup_info 0
		.amdhsa_system_vgpr_workitem_id 0
		.amdhsa_next_free_vgpr 1
		.amdhsa_next_free_sgpr 1
		.amdhsa_reserve_vcc 0
		.amdhsa_float_round_mode_32 0
		.amdhsa_float_round_mode_16_64 0
		.amdhsa_float_denorm_mode_32 3
		.amdhsa_float_denorm_mode_16_64 3
		.amdhsa_dx10_clamp 1
		.amdhsa_ieee_mode 1
		.amdhsa_fp16_overflow 0
		.amdhsa_workgroup_processor_mode 1
		.amdhsa_memory_ordered 1
		.amdhsa_forward_progress 0
		.amdhsa_shared_vgpr_count 0
		.amdhsa_exception_fp_ieee_invalid_op 0
		.amdhsa_exception_fp_denorm_src 0
		.amdhsa_exception_fp_ieee_div_zero 0
		.amdhsa_exception_fp_ieee_overflow 0
		.amdhsa_exception_fp_ieee_underflow 0
		.amdhsa_exception_fp_ieee_inexact 0
		.amdhsa_exception_int_div_zero 0
	.end_amdhsa_kernel
	.section	.text._Z16warp_load_kernelILj256ELj4ELj64ELN6hipcub17WarpLoadAlgorithmE0EdEvPT3_S3_,"axG",@progbits,_Z16warp_load_kernelILj256ELj4ELj64ELN6hipcub17WarpLoadAlgorithmE0EdEvPT3_S3_,comdat
.Lfunc_end56:
	.size	_Z16warp_load_kernelILj256ELj4ELj64ELN6hipcub17WarpLoadAlgorithmE0EdEvPT3_S3_, .Lfunc_end56-_Z16warp_load_kernelILj256ELj4ELj64ELN6hipcub17WarpLoadAlgorithmE0EdEvPT3_S3_
                                        ; -- End function
	.section	.AMDGPU.csdata,"",@progbits
; Kernel info:
; codeLenInByte = 4
; NumSgprs: 0
; NumVgprs: 0
; ScratchSize: 0
; MemoryBound: 0
; FloatMode: 240
; IeeeMode: 1
; LDSByteSize: 0 bytes/workgroup (compile time only)
; SGPRBlocks: 0
; VGPRBlocks: 0
; NumSGPRsForWavesPerEU: 1
; NumVGPRsForWavesPerEU: 1
; Occupancy: 16
; WaveLimiterHint : 0
; COMPUTE_PGM_RSRC2:SCRATCH_EN: 0
; COMPUTE_PGM_RSRC2:USER_SGPR: 15
; COMPUTE_PGM_RSRC2:TRAP_HANDLER: 0
; COMPUTE_PGM_RSRC2:TGID_X_EN: 1
; COMPUTE_PGM_RSRC2:TGID_Y_EN: 0
; COMPUTE_PGM_RSRC2:TGID_Z_EN: 0
; COMPUTE_PGM_RSRC2:TIDIG_COMP_CNT: 0
	.section	.text._Z16warp_load_kernelILj256ELj4ELj64ELN6hipcub17WarpLoadAlgorithmE1EdEvPT3_S3_,"axG",@progbits,_Z16warp_load_kernelILj256ELj4ELj64ELN6hipcub17WarpLoadAlgorithmE1EdEvPT3_S3_,comdat
	.protected	_Z16warp_load_kernelILj256ELj4ELj64ELN6hipcub17WarpLoadAlgorithmE1EdEvPT3_S3_ ; -- Begin function _Z16warp_load_kernelILj256ELj4ELj64ELN6hipcub17WarpLoadAlgorithmE1EdEvPT3_S3_
	.globl	_Z16warp_load_kernelILj256ELj4ELj64ELN6hipcub17WarpLoadAlgorithmE1EdEvPT3_S3_
	.p2align	8
	.type	_Z16warp_load_kernelILj256ELj4ELj64ELN6hipcub17WarpLoadAlgorithmE1EdEvPT3_S3_,@function
_Z16warp_load_kernelILj256ELj4ELj64ELN6hipcub17WarpLoadAlgorithmE1EdEvPT3_S3_: ; @_Z16warp_load_kernelILj256ELj4ELj64ELN6hipcub17WarpLoadAlgorithmE1EdEvPT3_S3_
; %bb.0:
	s_endpgm
	.section	.rodata,"a",@progbits
	.p2align	6, 0x0
	.amdhsa_kernel _Z16warp_load_kernelILj256ELj4ELj64ELN6hipcub17WarpLoadAlgorithmE1EdEvPT3_S3_
		.amdhsa_group_segment_fixed_size 0
		.amdhsa_private_segment_fixed_size 0
		.amdhsa_kernarg_size 16
		.amdhsa_user_sgpr_count 15
		.amdhsa_user_sgpr_dispatch_ptr 0
		.amdhsa_user_sgpr_queue_ptr 0
		.amdhsa_user_sgpr_kernarg_segment_ptr 1
		.amdhsa_user_sgpr_dispatch_id 0
		.amdhsa_user_sgpr_private_segment_size 0
		.amdhsa_wavefront_size32 1
		.amdhsa_uses_dynamic_stack 0
		.amdhsa_enable_private_segment 0
		.amdhsa_system_sgpr_workgroup_id_x 1
		.amdhsa_system_sgpr_workgroup_id_y 0
		.amdhsa_system_sgpr_workgroup_id_z 0
		.amdhsa_system_sgpr_workgroup_info 0
		.amdhsa_system_vgpr_workitem_id 0
		.amdhsa_next_free_vgpr 1
		.amdhsa_next_free_sgpr 1
		.amdhsa_reserve_vcc 0
		.amdhsa_float_round_mode_32 0
		.amdhsa_float_round_mode_16_64 0
		.amdhsa_float_denorm_mode_32 3
		.amdhsa_float_denorm_mode_16_64 3
		.amdhsa_dx10_clamp 1
		.amdhsa_ieee_mode 1
		.amdhsa_fp16_overflow 0
		.amdhsa_workgroup_processor_mode 1
		.amdhsa_memory_ordered 1
		.amdhsa_forward_progress 0
		.amdhsa_shared_vgpr_count 0
		.amdhsa_exception_fp_ieee_invalid_op 0
		.amdhsa_exception_fp_denorm_src 0
		.amdhsa_exception_fp_ieee_div_zero 0
		.amdhsa_exception_fp_ieee_overflow 0
		.amdhsa_exception_fp_ieee_underflow 0
		.amdhsa_exception_fp_ieee_inexact 0
		.amdhsa_exception_int_div_zero 0
	.end_amdhsa_kernel
	.section	.text._Z16warp_load_kernelILj256ELj4ELj64ELN6hipcub17WarpLoadAlgorithmE1EdEvPT3_S3_,"axG",@progbits,_Z16warp_load_kernelILj256ELj4ELj64ELN6hipcub17WarpLoadAlgorithmE1EdEvPT3_S3_,comdat
.Lfunc_end57:
	.size	_Z16warp_load_kernelILj256ELj4ELj64ELN6hipcub17WarpLoadAlgorithmE1EdEvPT3_S3_, .Lfunc_end57-_Z16warp_load_kernelILj256ELj4ELj64ELN6hipcub17WarpLoadAlgorithmE1EdEvPT3_S3_
                                        ; -- End function
	.section	.AMDGPU.csdata,"",@progbits
; Kernel info:
; codeLenInByte = 4
; NumSgprs: 0
; NumVgprs: 0
; ScratchSize: 0
; MemoryBound: 0
; FloatMode: 240
; IeeeMode: 1
; LDSByteSize: 0 bytes/workgroup (compile time only)
; SGPRBlocks: 0
; VGPRBlocks: 0
; NumSGPRsForWavesPerEU: 1
; NumVGPRsForWavesPerEU: 1
; Occupancy: 16
; WaveLimiterHint : 0
; COMPUTE_PGM_RSRC2:SCRATCH_EN: 0
; COMPUTE_PGM_RSRC2:USER_SGPR: 15
; COMPUTE_PGM_RSRC2:TRAP_HANDLER: 0
; COMPUTE_PGM_RSRC2:TGID_X_EN: 1
; COMPUTE_PGM_RSRC2:TGID_Y_EN: 0
; COMPUTE_PGM_RSRC2:TGID_Z_EN: 0
; COMPUTE_PGM_RSRC2:TIDIG_COMP_CNT: 0
	.section	.text._Z16warp_load_kernelILj256ELj4ELj64ELN6hipcub17WarpLoadAlgorithmE2EdEvPT3_S3_,"axG",@progbits,_Z16warp_load_kernelILj256ELj4ELj64ELN6hipcub17WarpLoadAlgorithmE2EdEvPT3_S3_,comdat
	.protected	_Z16warp_load_kernelILj256ELj4ELj64ELN6hipcub17WarpLoadAlgorithmE2EdEvPT3_S3_ ; -- Begin function _Z16warp_load_kernelILj256ELj4ELj64ELN6hipcub17WarpLoadAlgorithmE2EdEvPT3_S3_
	.globl	_Z16warp_load_kernelILj256ELj4ELj64ELN6hipcub17WarpLoadAlgorithmE2EdEvPT3_S3_
	.p2align	8
	.type	_Z16warp_load_kernelILj256ELj4ELj64ELN6hipcub17WarpLoadAlgorithmE2EdEvPT3_S3_,@function
_Z16warp_load_kernelILj256ELj4ELj64ELN6hipcub17WarpLoadAlgorithmE2EdEvPT3_S3_: ; @_Z16warp_load_kernelILj256ELj4ELj64ELN6hipcub17WarpLoadAlgorithmE2EdEvPT3_S3_
; %bb.0:
	s_endpgm
	.section	.rodata,"a",@progbits
	.p2align	6, 0x0
	.amdhsa_kernel _Z16warp_load_kernelILj256ELj4ELj64ELN6hipcub17WarpLoadAlgorithmE2EdEvPT3_S3_
		.amdhsa_group_segment_fixed_size 0
		.amdhsa_private_segment_fixed_size 0
		.amdhsa_kernarg_size 16
		.amdhsa_user_sgpr_count 15
		.amdhsa_user_sgpr_dispatch_ptr 0
		.amdhsa_user_sgpr_queue_ptr 0
		.amdhsa_user_sgpr_kernarg_segment_ptr 1
		.amdhsa_user_sgpr_dispatch_id 0
		.amdhsa_user_sgpr_private_segment_size 0
		.amdhsa_wavefront_size32 1
		.amdhsa_uses_dynamic_stack 0
		.amdhsa_enable_private_segment 0
		.amdhsa_system_sgpr_workgroup_id_x 1
		.amdhsa_system_sgpr_workgroup_id_y 0
		.amdhsa_system_sgpr_workgroup_id_z 0
		.amdhsa_system_sgpr_workgroup_info 0
		.amdhsa_system_vgpr_workitem_id 0
		.amdhsa_next_free_vgpr 1
		.amdhsa_next_free_sgpr 1
		.amdhsa_reserve_vcc 0
		.amdhsa_float_round_mode_32 0
		.amdhsa_float_round_mode_16_64 0
		.amdhsa_float_denorm_mode_32 3
		.amdhsa_float_denorm_mode_16_64 3
		.amdhsa_dx10_clamp 1
		.amdhsa_ieee_mode 1
		.amdhsa_fp16_overflow 0
		.amdhsa_workgroup_processor_mode 1
		.amdhsa_memory_ordered 1
		.amdhsa_forward_progress 0
		.amdhsa_shared_vgpr_count 0
		.amdhsa_exception_fp_ieee_invalid_op 0
		.amdhsa_exception_fp_denorm_src 0
		.amdhsa_exception_fp_ieee_div_zero 0
		.amdhsa_exception_fp_ieee_overflow 0
		.amdhsa_exception_fp_ieee_underflow 0
		.amdhsa_exception_fp_ieee_inexact 0
		.amdhsa_exception_int_div_zero 0
	.end_amdhsa_kernel
	.section	.text._Z16warp_load_kernelILj256ELj4ELj64ELN6hipcub17WarpLoadAlgorithmE2EdEvPT3_S3_,"axG",@progbits,_Z16warp_load_kernelILj256ELj4ELj64ELN6hipcub17WarpLoadAlgorithmE2EdEvPT3_S3_,comdat
.Lfunc_end58:
	.size	_Z16warp_load_kernelILj256ELj4ELj64ELN6hipcub17WarpLoadAlgorithmE2EdEvPT3_S3_, .Lfunc_end58-_Z16warp_load_kernelILj256ELj4ELj64ELN6hipcub17WarpLoadAlgorithmE2EdEvPT3_S3_
                                        ; -- End function
	.section	.AMDGPU.csdata,"",@progbits
; Kernel info:
; codeLenInByte = 4
; NumSgprs: 0
; NumVgprs: 0
; ScratchSize: 0
; MemoryBound: 0
; FloatMode: 240
; IeeeMode: 1
; LDSByteSize: 0 bytes/workgroup (compile time only)
; SGPRBlocks: 0
; VGPRBlocks: 0
; NumSGPRsForWavesPerEU: 1
; NumVGPRsForWavesPerEU: 1
; Occupancy: 16
; WaveLimiterHint : 0
; COMPUTE_PGM_RSRC2:SCRATCH_EN: 0
; COMPUTE_PGM_RSRC2:USER_SGPR: 15
; COMPUTE_PGM_RSRC2:TRAP_HANDLER: 0
; COMPUTE_PGM_RSRC2:TGID_X_EN: 1
; COMPUTE_PGM_RSRC2:TGID_Y_EN: 0
; COMPUTE_PGM_RSRC2:TGID_Z_EN: 0
; COMPUTE_PGM_RSRC2:TIDIG_COMP_CNT: 0
	.section	.text._Z16warp_load_kernelILj256ELj4ELj64ELN6hipcub17WarpLoadAlgorithmE3EdEvPT3_S3_,"axG",@progbits,_Z16warp_load_kernelILj256ELj4ELj64ELN6hipcub17WarpLoadAlgorithmE3EdEvPT3_S3_,comdat
	.protected	_Z16warp_load_kernelILj256ELj4ELj64ELN6hipcub17WarpLoadAlgorithmE3EdEvPT3_S3_ ; -- Begin function _Z16warp_load_kernelILj256ELj4ELj64ELN6hipcub17WarpLoadAlgorithmE3EdEvPT3_S3_
	.globl	_Z16warp_load_kernelILj256ELj4ELj64ELN6hipcub17WarpLoadAlgorithmE3EdEvPT3_S3_
	.p2align	8
	.type	_Z16warp_load_kernelILj256ELj4ELj64ELN6hipcub17WarpLoadAlgorithmE3EdEvPT3_S3_,@function
_Z16warp_load_kernelILj256ELj4ELj64ELN6hipcub17WarpLoadAlgorithmE3EdEvPT3_S3_: ; @_Z16warp_load_kernelILj256ELj4ELj64ELN6hipcub17WarpLoadAlgorithmE3EdEvPT3_S3_
; %bb.0:
	s_endpgm
	.section	.rodata,"a",@progbits
	.p2align	6, 0x0
	.amdhsa_kernel _Z16warp_load_kernelILj256ELj4ELj64ELN6hipcub17WarpLoadAlgorithmE3EdEvPT3_S3_
		.amdhsa_group_segment_fixed_size 0
		.amdhsa_private_segment_fixed_size 0
		.amdhsa_kernarg_size 16
		.amdhsa_user_sgpr_count 15
		.amdhsa_user_sgpr_dispatch_ptr 0
		.amdhsa_user_sgpr_queue_ptr 0
		.amdhsa_user_sgpr_kernarg_segment_ptr 1
		.amdhsa_user_sgpr_dispatch_id 0
		.amdhsa_user_sgpr_private_segment_size 0
		.amdhsa_wavefront_size32 1
		.amdhsa_uses_dynamic_stack 0
		.amdhsa_enable_private_segment 0
		.amdhsa_system_sgpr_workgroup_id_x 1
		.amdhsa_system_sgpr_workgroup_id_y 0
		.amdhsa_system_sgpr_workgroup_id_z 0
		.amdhsa_system_sgpr_workgroup_info 0
		.amdhsa_system_vgpr_workitem_id 0
		.amdhsa_next_free_vgpr 1
		.amdhsa_next_free_sgpr 1
		.amdhsa_reserve_vcc 0
		.amdhsa_float_round_mode_32 0
		.amdhsa_float_round_mode_16_64 0
		.amdhsa_float_denorm_mode_32 3
		.amdhsa_float_denorm_mode_16_64 3
		.amdhsa_dx10_clamp 1
		.amdhsa_ieee_mode 1
		.amdhsa_fp16_overflow 0
		.amdhsa_workgroup_processor_mode 1
		.amdhsa_memory_ordered 1
		.amdhsa_forward_progress 0
		.amdhsa_shared_vgpr_count 0
		.amdhsa_exception_fp_ieee_invalid_op 0
		.amdhsa_exception_fp_denorm_src 0
		.amdhsa_exception_fp_ieee_div_zero 0
		.amdhsa_exception_fp_ieee_overflow 0
		.amdhsa_exception_fp_ieee_underflow 0
		.amdhsa_exception_fp_ieee_inexact 0
		.amdhsa_exception_int_div_zero 0
	.end_amdhsa_kernel
	.section	.text._Z16warp_load_kernelILj256ELj4ELj64ELN6hipcub17WarpLoadAlgorithmE3EdEvPT3_S3_,"axG",@progbits,_Z16warp_load_kernelILj256ELj4ELj64ELN6hipcub17WarpLoadAlgorithmE3EdEvPT3_S3_,comdat
.Lfunc_end59:
	.size	_Z16warp_load_kernelILj256ELj4ELj64ELN6hipcub17WarpLoadAlgorithmE3EdEvPT3_S3_, .Lfunc_end59-_Z16warp_load_kernelILj256ELj4ELj64ELN6hipcub17WarpLoadAlgorithmE3EdEvPT3_S3_
                                        ; -- End function
	.section	.AMDGPU.csdata,"",@progbits
; Kernel info:
; codeLenInByte = 4
; NumSgprs: 0
; NumVgprs: 0
; ScratchSize: 0
; MemoryBound: 0
; FloatMode: 240
; IeeeMode: 1
; LDSByteSize: 0 bytes/workgroup (compile time only)
; SGPRBlocks: 0
; VGPRBlocks: 0
; NumSGPRsForWavesPerEU: 1
; NumVGPRsForWavesPerEU: 1
; Occupancy: 16
; WaveLimiterHint : 0
; COMPUTE_PGM_RSRC2:SCRATCH_EN: 0
; COMPUTE_PGM_RSRC2:USER_SGPR: 15
; COMPUTE_PGM_RSRC2:TRAP_HANDLER: 0
; COMPUTE_PGM_RSRC2:TGID_X_EN: 1
; COMPUTE_PGM_RSRC2:TGID_Y_EN: 0
; COMPUTE_PGM_RSRC2:TGID_Z_EN: 0
; COMPUTE_PGM_RSRC2:TIDIG_COMP_CNT: 0
	.section	.text._Z16warp_load_kernelILj256ELj8ELj64ELN6hipcub17WarpLoadAlgorithmE0EdEvPT3_S3_,"axG",@progbits,_Z16warp_load_kernelILj256ELj8ELj64ELN6hipcub17WarpLoadAlgorithmE0EdEvPT3_S3_,comdat
	.protected	_Z16warp_load_kernelILj256ELj8ELj64ELN6hipcub17WarpLoadAlgorithmE0EdEvPT3_S3_ ; -- Begin function _Z16warp_load_kernelILj256ELj8ELj64ELN6hipcub17WarpLoadAlgorithmE0EdEvPT3_S3_
	.globl	_Z16warp_load_kernelILj256ELj8ELj64ELN6hipcub17WarpLoadAlgorithmE0EdEvPT3_S3_
	.p2align	8
	.type	_Z16warp_load_kernelILj256ELj8ELj64ELN6hipcub17WarpLoadAlgorithmE0EdEvPT3_S3_,@function
_Z16warp_load_kernelILj256ELj8ELj64ELN6hipcub17WarpLoadAlgorithmE0EdEvPT3_S3_: ; @_Z16warp_load_kernelILj256ELj8ELj64ELN6hipcub17WarpLoadAlgorithmE0EdEvPT3_S3_
; %bb.0:
	s_endpgm
	.section	.rodata,"a",@progbits
	.p2align	6, 0x0
	.amdhsa_kernel _Z16warp_load_kernelILj256ELj8ELj64ELN6hipcub17WarpLoadAlgorithmE0EdEvPT3_S3_
		.amdhsa_group_segment_fixed_size 0
		.amdhsa_private_segment_fixed_size 0
		.amdhsa_kernarg_size 16
		.amdhsa_user_sgpr_count 15
		.amdhsa_user_sgpr_dispatch_ptr 0
		.amdhsa_user_sgpr_queue_ptr 0
		.amdhsa_user_sgpr_kernarg_segment_ptr 1
		.amdhsa_user_sgpr_dispatch_id 0
		.amdhsa_user_sgpr_private_segment_size 0
		.amdhsa_wavefront_size32 1
		.amdhsa_uses_dynamic_stack 0
		.amdhsa_enable_private_segment 0
		.amdhsa_system_sgpr_workgroup_id_x 1
		.amdhsa_system_sgpr_workgroup_id_y 0
		.amdhsa_system_sgpr_workgroup_id_z 0
		.amdhsa_system_sgpr_workgroup_info 0
		.amdhsa_system_vgpr_workitem_id 0
		.amdhsa_next_free_vgpr 1
		.amdhsa_next_free_sgpr 1
		.amdhsa_reserve_vcc 0
		.amdhsa_float_round_mode_32 0
		.amdhsa_float_round_mode_16_64 0
		.amdhsa_float_denorm_mode_32 3
		.amdhsa_float_denorm_mode_16_64 3
		.amdhsa_dx10_clamp 1
		.amdhsa_ieee_mode 1
		.amdhsa_fp16_overflow 0
		.amdhsa_workgroup_processor_mode 1
		.amdhsa_memory_ordered 1
		.amdhsa_forward_progress 0
		.amdhsa_shared_vgpr_count 0
		.amdhsa_exception_fp_ieee_invalid_op 0
		.amdhsa_exception_fp_denorm_src 0
		.amdhsa_exception_fp_ieee_div_zero 0
		.amdhsa_exception_fp_ieee_overflow 0
		.amdhsa_exception_fp_ieee_underflow 0
		.amdhsa_exception_fp_ieee_inexact 0
		.amdhsa_exception_int_div_zero 0
	.end_amdhsa_kernel
	.section	.text._Z16warp_load_kernelILj256ELj8ELj64ELN6hipcub17WarpLoadAlgorithmE0EdEvPT3_S3_,"axG",@progbits,_Z16warp_load_kernelILj256ELj8ELj64ELN6hipcub17WarpLoadAlgorithmE0EdEvPT3_S3_,comdat
.Lfunc_end60:
	.size	_Z16warp_load_kernelILj256ELj8ELj64ELN6hipcub17WarpLoadAlgorithmE0EdEvPT3_S3_, .Lfunc_end60-_Z16warp_load_kernelILj256ELj8ELj64ELN6hipcub17WarpLoadAlgorithmE0EdEvPT3_S3_
                                        ; -- End function
	.section	.AMDGPU.csdata,"",@progbits
; Kernel info:
; codeLenInByte = 4
; NumSgprs: 0
; NumVgprs: 0
; ScratchSize: 0
; MemoryBound: 0
; FloatMode: 240
; IeeeMode: 1
; LDSByteSize: 0 bytes/workgroup (compile time only)
; SGPRBlocks: 0
; VGPRBlocks: 0
; NumSGPRsForWavesPerEU: 1
; NumVGPRsForWavesPerEU: 1
; Occupancy: 16
; WaveLimiterHint : 0
; COMPUTE_PGM_RSRC2:SCRATCH_EN: 0
; COMPUTE_PGM_RSRC2:USER_SGPR: 15
; COMPUTE_PGM_RSRC2:TRAP_HANDLER: 0
; COMPUTE_PGM_RSRC2:TGID_X_EN: 1
; COMPUTE_PGM_RSRC2:TGID_Y_EN: 0
; COMPUTE_PGM_RSRC2:TGID_Z_EN: 0
; COMPUTE_PGM_RSRC2:TIDIG_COMP_CNT: 0
	.section	.text._Z16warp_load_kernelILj256ELj8ELj64ELN6hipcub17WarpLoadAlgorithmE1EdEvPT3_S3_,"axG",@progbits,_Z16warp_load_kernelILj256ELj8ELj64ELN6hipcub17WarpLoadAlgorithmE1EdEvPT3_S3_,comdat
	.protected	_Z16warp_load_kernelILj256ELj8ELj64ELN6hipcub17WarpLoadAlgorithmE1EdEvPT3_S3_ ; -- Begin function _Z16warp_load_kernelILj256ELj8ELj64ELN6hipcub17WarpLoadAlgorithmE1EdEvPT3_S3_
	.globl	_Z16warp_load_kernelILj256ELj8ELj64ELN6hipcub17WarpLoadAlgorithmE1EdEvPT3_S3_
	.p2align	8
	.type	_Z16warp_load_kernelILj256ELj8ELj64ELN6hipcub17WarpLoadAlgorithmE1EdEvPT3_S3_,@function
_Z16warp_load_kernelILj256ELj8ELj64ELN6hipcub17WarpLoadAlgorithmE1EdEvPT3_S3_: ; @_Z16warp_load_kernelILj256ELj8ELj64ELN6hipcub17WarpLoadAlgorithmE1EdEvPT3_S3_
; %bb.0:
	s_endpgm
	.section	.rodata,"a",@progbits
	.p2align	6, 0x0
	.amdhsa_kernel _Z16warp_load_kernelILj256ELj8ELj64ELN6hipcub17WarpLoadAlgorithmE1EdEvPT3_S3_
		.amdhsa_group_segment_fixed_size 0
		.amdhsa_private_segment_fixed_size 0
		.amdhsa_kernarg_size 16
		.amdhsa_user_sgpr_count 15
		.amdhsa_user_sgpr_dispatch_ptr 0
		.amdhsa_user_sgpr_queue_ptr 0
		.amdhsa_user_sgpr_kernarg_segment_ptr 1
		.amdhsa_user_sgpr_dispatch_id 0
		.amdhsa_user_sgpr_private_segment_size 0
		.amdhsa_wavefront_size32 1
		.amdhsa_uses_dynamic_stack 0
		.amdhsa_enable_private_segment 0
		.amdhsa_system_sgpr_workgroup_id_x 1
		.amdhsa_system_sgpr_workgroup_id_y 0
		.amdhsa_system_sgpr_workgroup_id_z 0
		.amdhsa_system_sgpr_workgroup_info 0
		.amdhsa_system_vgpr_workitem_id 0
		.amdhsa_next_free_vgpr 1
		.amdhsa_next_free_sgpr 1
		.amdhsa_reserve_vcc 0
		.amdhsa_float_round_mode_32 0
		.amdhsa_float_round_mode_16_64 0
		.amdhsa_float_denorm_mode_32 3
		.amdhsa_float_denorm_mode_16_64 3
		.amdhsa_dx10_clamp 1
		.amdhsa_ieee_mode 1
		.amdhsa_fp16_overflow 0
		.amdhsa_workgroup_processor_mode 1
		.amdhsa_memory_ordered 1
		.amdhsa_forward_progress 0
		.amdhsa_shared_vgpr_count 0
		.amdhsa_exception_fp_ieee_invalid_op 0
		.amdhsa_exception_fp_denorm_src 0
		.amdhsa_exception_fp_ieee_div_zero 0
		.amdhsa_exception_fp_ieee_overflow 0
		.amdhsa_exception_fp_ieee_underflow 0
		.amdhsa_exception_fp_ieee_inexact 0
		.amdhsa_exception_int_div_zero 0
	.end_amdhsa_kernel
	.section	.text._Z16warp_load_kernelILj256ELj8ELj64ELN6hipcub17WarpLoadAlgorithmE1EdEvPT3_S3_,"axG",@progbits,_Z16warp_load_kernelILj256ELj8ELj64ELN6hipcub17WarpLoadAlgorithmE1EdEvPT3_S3_,comdat
.Lfunc_end61:
	.size	_Z16warp_load_kernelILj256ELj8ELj64ELN6hipcub17WarpLoadAlgorithmE1EdEvPT3_S3_, .Lfunc_end61-_Z16warp_load_kernelILj256ELj8ELj64ELN6hipcub17WarpLoadAlgorithmE1EdEvPT3_S3_
                                        ; -- End function
	.section	.AMDGPU.csdata,"",@progbits
; Kernel info:
; codeLenInByte = 4
; NumSgprs: 0
; NumVgprs: 0
; ScratchSize: 0
; MemoryBound: 0
; FloatMode: 240
; IeeeMode: 1
; LDSByteSize: 0 bytes/workgroup (compile time only)
; SGPRBlocks: 0
; VGPRBlocks: 0
; NumSGPRsForWavesPerEU: 1
; NumVGPRsForWavesPerEU: 1
; Occupancy: 16
; WaveLimiterHint : 0
; COMPUTE_PGM_RSRC2:SCRATCH_EN: 0
; COMPUTE_PGM_RSRC2:USER_SGPR: 15
; COMPUTE_PGM_RSRC2:TRAP_HANDLER: 0
; COMPUTE_PGM_RSRC2:TGID_X_EN: 1
; COMPUTE_PGM_RSRC2:TGID_Y_EN: 0
; COMPUTE_PGM_RSRC2:TGID_Z_EN: 0
; COMPUTE_PGM_RSRC2:TIDIG_COMP_CNT: 0
	.section	.text._Z16warp_load_kernelILj256ELj8ELj64ELN6hipcub17WarpLoadAlgorithmE2EdEvPT3_S3_,"axG",@progbits,_Z16warp_load_kernelILj256ELj8ELj64ELN6hipcub17WarpLoadAlgorithmE2EdEvPT3_S3_,comdat
	.protected	_Z16warp_load_kernelILj256ELj8ELj64ELN6hipcub17WarpLoadAlgorithmE2EdEvPT3_S3_ ; -- Begin function _Z16warp_load_kernelILj256ELj8ELj64ELN6hipcub17WarpLoadAlgorithmE2EdEvPT3_S3_
	.globl	_Z16warp_load_kernelILj256ELj8ELj64ELN6hipcub17WarpLoadAlgorithmE2EdEvPT3_S3_
	.p2align	8
	.type	_Z16warp_load_kernelILj256ELj8ELj64ELN6hipcub17WarpLoadAlgorithmE2EdEvPT3_S3_,@function
_Z16warp_load_kernelILj256ELj8ELj64ELN6hipcub17WarpLoadAlgorithmE2EdEvPT3_S3_: ; @_Z16warp_load_kernelILj256ELj8ELj64ELN6hipcub17WarpLoadAlgorithmE2EdEvPT3_S3_
; %bb.0:
	s_endpgm
	.section	.rodata,"a",@progbits
	.p2align	6, 0x0
	.amdhsa_kernel _Z16warp_load_kernelILj256ELj8ELj64ELN6hipcub17WarpLoadAlgorithmE2EdEvPT3_S3_
		.amdhsa_group_segment_fixed_size 0
		.amdhsa_private_segment_fixed_size 0
		.amdhsa_kernarg_size 16
		.amdhsa_user_sgpr_count 15
		.amdhsa_user_sgpr_dispatch_ptr 0
		.amdhsa_user_sgpr_queue_ptr 0
		.amdhsa_user_sgpr_kernarg_segment_ptr 1
		.amdhsa_user_sgpr_dispatch_id 0
		.amdhsa_user_sgpr_private_segment_size 0
		.amdhsa_wavefront_size32 1
		.amdhsa_uses_dynamic_stack 0
		.amdhsa_enable_private_segment 0
		.amdhsa_system_sgpr_workgroup_id_x 1
		.amdhsa_system_sgpr_workgroup_id_y 0
		.amdhsa_system_sgpr_workgroup_id_z 0
		.amdhsa_system_sgpr_workgroup_info 0
		.amdhsa_system_vgpr_workitem_id 0
		.amdhsa_next_free_vgpr 1
		.amdhsa_next_free_sgpr 1
		.amdhsa_reserve_vcc 0
		.amdhsa_float_round_mode_32 0
		.amdhsa_float_round_mode_16_64 0
		.amdhsa_float_denorm_mode_32 3
		.amdhsa_float_denorm_mode_16_64 3
		.amdhsa_dx10_clamp 1
		.amdhsa_ieee_mode 1
		.amdhsa_fp16_overflow 0
		.amdhsa_workgroup_processor_mode 1
		.amdhsa_memory_ordered 1
		.amdhsa_forward_progress 0
		.amdhsa_shared_vgpr_count 0
		.amdhsa_exception_fp_ieee_invalid_op 0
		.amdhsa_exception_fp_denorm_src 0
		.amdhsa_exception_fp_ieee_div_zero 0
		.amdhsa_exception_fp_ieee_overflow 0
		.amdhsa_exception_fp_ieee_underflow 0
		.amdhsa_exception_fp_ieee_inexact 0
		.amdhsa_exception_int_div_zero 0
	.end_amdhsa_kernel
	.section	.text._Z16warp_load_kernelILj256ELj8ELj64ELN6hipcub17WarpLoadAlgorithmE2EdEvPT3_S3_,"axG",@progbits,_Z16warp_load_kernelILj256ELj8ELj64ELN6hipcub17WarpLoadAlgorithmE2EdEvPT3_S3_,comdat
.Lfunc_end62:
	.size	_Z16warp_load_kernelILj256ELj8ELj64ELN6hipcub17WarpLoadAlgorithmE2EdEvPT3_S3_, .Lfunc_end62-_Z16warp_load_kernelILj256ELj8ELj64ELN6hipcub17WarpLoadAlgorithmE2EdEvPT3_S3_
                                        ; -- End function
	.section	.AMDGPU.csdata,"",@progbits
; Kernel info:
; codeLenInByte = 4
; NumSgprs: 0
; NumVgprs: 0
; ScratchSize: 0
; MemoryBound: 0
; FloatMode: 240
; IeeeMode: 1
; LDSByteSize: 0 bytes/workgroup (compile time only)
; SGPRBlocks: 0
; VGPRBlocks: 0
; NumSGPRsForWavesPerEU: 1
; NumVGPRsForWavesPerEU: 1
; Occupancy: 16
; WaveLimiterHint : 0
; COMPUTE_PGM_RSRC2:SCRATCH_EN: 0
; COMPUTE_PGM_RSRC2:USER_SGPR: 15
; COMPUTE_PGM_RSRC2:TRAP_HANDLER: 0
; COMPUTE_PGM_RSRC2:TGID_X_EN: 1
; COMPUTE_PGM_RSRC2:TGID_Y_EN: 0
; COMPUTE_PGM_RSRC2:TGID_Z_EN: 0
; COMPUTE_PGM_RSRC2:TIDIG_COMP_CNT: 0
	.section	.text._Z16warp_load_kernelILj256ELj8ELj64ELN6hipcub17WarpLoadAlgorithmE3EdEvPT3_S3_,"axG",@progbits,_Z16warp_load_kernelILj256ELj8ELj64ELN6hipcub17WarpLoadAlgorithmE3EdEvPT3_S3_,comdat
	.protected	_Z16warp_load_kernelILj256ELj8ELj64ELN6hipcub17WarpLoadAlgorithmE3EdEvPT3_S3_ ; -- Begin function _Z16warp_load_kernelILj256ELj8ELj64ELN6hipcub17WarpLoadAlgorithmE3EdEvPT3_S3_
	.globl	_Z16warp_load_kernelILj256ELj8ELj64ELN6hipcub17WarpLoadAlgorithmE3EdEvPT3_S3_
	.p2align	8
	.type	_Z16warp_load_kernelILj256ELj8ELj64ELN6hipcub17WarpLoadAlgorithmE3EdEvPT3_S3_,@function
_Z16warp_load_kernelILj256ELj8ELj64ELN6hipcub17WarpLoadAlgorithmE3EdEvPT3_S3_: ; @_Z16warp_load_kernelILj256ELj8ELj64ELN6hipcub17WarpLoadAlgorithmE3EdEvPT3_S3_
; %bb.0:
	s_endpgm
	.section	.rodata,"a",@progbits
	.p2align	6, 0x0
	.amdhsa_kernel _Z16warp_load_kernelILj256ELj8ELj64ELN6hipcub17WarpLoadAlgorithmE3EdEvPT3_S3_
		.amdhsa_group_segment_fixed_size 0
		.amdhsa_private_segment_fixed_size 0
		.amdhsa_kernarg_size 16
		.amdhsa_user_sgpr_count 15
		.amdhsa_user_sgpr_dispatch_ptr 0
		.amdhsa_user_sgpr_queue_ptr 0
		.amdhsa_user_sgpr_kernarg_segment_ptr 1
		.amdhsa_user_sgpr_dispatch_id 0
		.amdhsa_user_sgpr_private_segment_size 0
		.amdhsa_wavefront_size32 1
		.amdhsa_uses_dynamic_stack 0
		.amdhsa_enable_private_segment 0
		.amdhsa_system_sgpr_workgroup_id_x 1
		.amdhsa_system_sgpr_workgroup_id_y 0
		.amdhsa_system_sgpr_workgroup_id_z 0
		.amdhsa_system_sgpr_workgroup_info 0
		.amdhsa_system_vgpr_workitem_id 0
		.amdhsa_next_free_vgpr 1
		.amdhsa_next_free_sgpr 1
		.amdhsa_reserve_vcc 0
		.amdhsa_float_round_mode_32 0
		.amdhsa_float_round_mode_16_64 0
		.amdhsa_float_denorm_mode_32 3
		.amdhsa_float_denorm_mode_16_64 3
		.amdhsa_dx10_clamp 1
		.amdhsa_ieee_mode 1
		.amdhsa_fp16_overflow 0
		.amdhsa_workgroup_processor_mode 1
		.amdhsa_memory_ordered 1
		.amdhsa_forward_progress 0
		.amdhsa_shared_vgpr_count 0
		.amdhsa_exception_fp_ieee_invalid_op 0
		.amdhsa_exception_fp_denorm_src 0
		.amdhsa_exception_fp_ieee_div_zero 0
		.amdhsa_exception_fp_ieee_overflow 0
		.amdhsa_exception_fp_ieee_underflow 0
		.amdhsa_exception_fp_ieee_inexact 0
		.amdhsa_exception_int_div_zero 0
	.end_amdhsa_kernel
	.section	.text._Z16warp_load_kernelILj256ELj8ELj64ELN6hipcub17WarpLoadAlgorithmE3EdEvPT3_S3_,"axG",@progbits,_Z16warp_load_kernelILj256ELj8ELj64ELN6hipcub17WarpLoadAlgorithmE3EdEvPT3_S3_,comdat
.Lfunc_end63:
	.size	_Z16warp_load_kernelILj256ELj8ELj64ELN6hipcub17WarpLoadAlgorithmE3EdEvPT3_S3_, .Lfunc_end63-_Z16warp_load_kernelILj256ELj8ELj64ELN6hipcub17WarpLoadAlgorithmE3EdEvPT3_S3_
                                        ; -- End function
	.section	.AMDGPU.csdata,"",@progbits
; Kernel info:
; codeLenInByte = 4
; NumSgprs: 0
; NumVgprs: 0
; ScratchSize: 0
; MemoryBound: 0
; FloatMode: 240
; IeeeMode: 1
; LDSByteSize: 0 bytes/workgroup (compile time only)
; SGPRBlocks: 0
; VGPRBlocks: 0
; NumSGPRsForWavesPerEU: 1
; NumVGPRsForWavesPerEU: 1
; Occupancy: 16
; WaveLimiterHint : 0
; COMPUTE_PGM_RSRC2:SCRATCH_EN: 0
; COMPUTE_PGM_RSRC2:USER_SGPR: 15
; COMPUTE_PGM_RSRC2:TRAP_HANDLER: 0
; COMPUTE_PGM_RSRC2:TGID_X_EN: 1
; COMPUTE_PGM_RSRC2:TGID_Y_EN: 0
; COMPUTE_PGM_RSRC2:TGID_Z_EN: 0
; COMPUTE_PGM_RSRC2:TIDIG_COMP_CNT: 0
	.section	.text._Z16warp_load_kernelILj256ELj16ELj64ELN6hipcub17WarpLoadAlgorithmE0EdEvPT3_S3_,"axG",@progbits,_Z16warp_load_kernelILj256ELj16ELj64ELN6hipcub17WarpLoadAlgorithmE0EdEvPT3_S3_,comdat
	.protected	_Z16warp_load_kernelILj256ELj16ELj64ELN6hipcub17WarpLoadAlgorithmE0EdEvPT3_S3_ ; -- Begin function _Z16warp_load_kernelILj256ELj16ELj64ELN6hipcub17WarpLoadAlgorithmE0EdEvPT3_S3_
	.globl	_Z16warp_load_kernelILj256ELj16ELj64ELN6hipcub17WarpLoadAlgorithmE0EdEvPT3_S3_
	.p2align	8
	.type	_Z16warp_load_kernelILj256ELj16ELj64ELN6hipcub17WarpLoadAlgorithmE0EdEvPT3_S3_,@function
_Z16warp_load_kernelILj256ELj16ELj64ELN6hipcub17WarpLoadAlgorithmE0EdEvPT3_S3_: ; @_Z16warp_load_kernelILj256ELj16ELj64ELN6hipcub17WarpLoadAlgorithmE0EdEvPT3_S3_
; %bb.0:
	s_endpgm
	.section	.rodata,"a",@progbits
	.p2align	6, 0x0
	.amdhsa_kernel _Z16warp_load_kernelILj256ELj16ELj64ELN6hipcub17WarpLoadAlgorithmE0EdEvPT3_S3_
		.amdhsa_group_segment_fixed_size 0
		.amdhsa_private_segment_fixed_size 0
		.amdhsa_kernarg_size 16
		.amdhsa_user_sgpr_count 15
		.amdhsa_user_sgpr_dispatch_ptr 0
		.amdhsa_user_sgpr_queue_ptr 0
		.amdhsa_user_sgpr_kernarg_segment_ptr 1
		.amdhsa_user_sgpr_dispatch_id 0
		.amdhsa_user_sgpr_private_segment_size 0
		.amdhsa_wavefront_size32 1
		.amdhsa_uses_dynamic_stack 0
		.amdhsa_enable_private_segment 0
		.amdhsa_system_sgpr_workgroup_id_x 1
		.amdhsa_system_sgpr_workgroup_id_y 0
		.amdhsa_system_sgpr_workgroup_id_z 0
		.amdhsa_system_sgpr_workgroup_info 0
		.amdhsa_system_vgpr_workitem_id 0
		.amdhsa_next_free_vgpr 1
		.amdhsa_next_free_sgpr 1
		.amdhsa_reserve_vcc 0
		.amdhsa_float_round_mode_32 0
		.amdhsa_float_round_mode_16_64 0
		.amdhsa_float_denorm_mode_32 3
		.amdhsa_float_denorm_mode_16_64 3
		.amdhsa_dx10_clamp 1
		.amdhsa_ieee_mode 1
		.amdhsa_fp16_overflow 0
		.amdhsa_workgroup_processor_mode 1
		.amdhsa_memory_ordered 1
		.amdhsa_forward_progress 0
		.amdhsa_shared_vgpr_count 0
		.amdhsa_exception_fp_ieee_invalid_op 0
		.amdhsa_exception_fp_denorm_src 0
		.amdhsa_exception_fp_ieee_div_zero 0
		.amdhsa_exception_fp_ieee_overflow 0
		.amdhsa_exception_fp_ieee_underflow 0
		.amdhsa_exception_fp_ieee_inexact 0
		.amdhsa_exception_int_div_zero 0
	.end_amdhsa_kernel
	.section	.text._Z16warp_load_kernelILj256ELj16ELj64ELN6hipcub17WarpLoadAlgorithmE0EdEvPT3_S3_,"axG",@progbits,_Z16warp_load_kernelILj256ELj16ELj64ELN6hipcub17WarpLoadAlgorithmE0EdEvPT3_S3_,comdat
.Lfunc_end64:
	.size	_Z16warp_load_kernelILj256ELj16ELj64ELN6hipcub17WarpLoadAlgorithmE0EdEvPT3_S3_, .Lfunc_end64-_Z16warp_load_kernelILj256ELj16ELj64ELN6hipcub17WarpLoadAlgorithmE0EdEvPT3_S3_
                                        ; -- End function
	.section	.AMDGPU.csdata,"",@progbits
; Kernel info:
; codeLenInByte = 4
; NumSgprs: 0
; NumVgprs: 0
; ScratchSize: 0
; MemoryBound: 0
; FloatMode: 240
; IeeeMode: 1
; LDSByteSize: 0 bytes/workgroup (compile time only)
; SGPRBlocks: 0
; VGPRBlocks: 0
; NumSGPRsForWavesPerEU: 1
; NumVGPRsForWavesPerEU: 1
; Occupancy: 16
; WaveLimiterHint : 0
; COMPUTE_PGM_RSRC2:SCRATCH_EN: 0
; COMPUTE_PGM_RSRC2:USER_SGPR: 15
; COMPUTE_PGM_RSRC2:TRAP_HANDLER: 0
; COMPUTE_PGM_RSRC2:TGID_X_EN: 1
; COMPUTE_PGM_RSRC2:TGID_Y_EN: 0
; COMPUTE_PGM_RSRC2:TGID_Z_EN: 0
; COMPUTE_PGM_RSRC2:TIDIG_COMP_CNT: 0
	.section	.text._Z16warp_load_kernelILj256ELj16ELj64ELN6hipcub17WarpLoadAlgorithmE1EdEvPT3_S3_,"axG",@progbits,_Z16warp_load_kernelILj256ELj16ELj64ELN6hipcub17WarpLoadAlgorithmE1EdEvPT3_S3_,comdat
	.protected	_Z16warp_load_kernelILj256ELj16ELj64ELN6hipcub17WarpLoadAlgorithmE1EdEvPT3_S3_ ; -- Begin function _Z16warp_load_kernelILj256ELj16ELj64ELN6hipcub17WarpLoadAlgorithmE1EdEvPT3_S3_
	.globl	_Z16warp_load_kernelILj256ELj16ELj64ELN6hipcub17WarpLoadAlgorithmE1EdEvPT3_S3_
	.p2align	8
	.type	_Z16warp_load_kernelILj256ELj16ELj64ELN6hipcub17WarpLoadAlgorithmE1EdEvPT3_S3_,@function
_Z16warp_load_kernelILj256ELj16ELj64ELN6hipcub17WarpLoadAlgorithmE1EdEvPT3_S3_: ; @_Z16warp_load_kernelILj256ELj16ELj64ELN6hipcub17WarpLoadAlgorithmE1EdEvPT3_S3_
; %bb.0:
	s_endpgm
	.section	.rodata,"a",@progbits
	.p2align	6, 0x0
	.amdhsa_kernel _Z16warp_load_kernelILj256ELj16ELj64ELN6hipcub17WarpLoadAlgorithmE1EdEvPT3_S3_
		.amdhsa_group_segment_fixed_size 0
		.amdhsa_private_segment_fixed_size 0
		.amdhsa_kernarg_size 16
		.amdhsa_user_sgpr_count 15
		.amdhsa_user_sgpr_dispatch_ptr 0
		.amdhsa_user_sgpr_queue_ptr 0
		.amdhsa_user_sgpr_kernarg_segment_ptr 1
		.amdhsa_user_sgpr_dispatch_id 0
		.amdhsa_user_sgpr_private_segment_size 0
		.amdhsa_wavefront_size32 1
		.amdhsa_uses_dynamic_stack 0
		.amdhsa_enable_private_segment 0
		.amdhsa_system_sgpr_workgroup_id_x 1
		.amdhsa_system_sgpr_workgroup_id_y 0
		.amdhsa_system_sgpr_workgroup_id_z 0
		.amdhsa_system_sgpr_workgroup_info 0
		.amdhsa_system_vgpr_workitem_id 0
		.amdhsa_next_free_vgpr 1
		.amdhsa_next_free_sgpr 1
		.amdhsa_reserve_vcc 0
		.amdhsa_float_round_mode_32 0
		.amdhsa_float_round_mode_16_64 0
		.amdhsa_float_denorm_mode_32 3
		.amdhsa_float_denorm_mode_16_64 3
		.amdhsa_dx10_clamp 1
		.amdhsa_ieee_mode 1
		.amdhsa_fp16_overflow 0
		.amdhsa_workgroup_processor_mode 1
		.amdhsa_memory_ordered 1
		.amdhsa_forward_progress 0
		.amdhsa_shared_vgpr_count 0
		.amdhsa_exception_fp_ieee_invalid_op 0
		.amdhsa_exception_fp_denorm_src 0
		.amdhsa_exception_fp_ieee_div_zero 0
		.amdhsa_exception_fp_ieee_overflow 0
		.amdhsa_exception_fp_ieee_underflow 0
		.amdhsa_exception_fp_ieee_inexact 0
		.amdhsa_exception_int_div_zero 0
	.end_amdhsa_kernel
	.section	.text._Z16warp_load_kernelILj256ELj16ELj64ELN6hipcub17WarpLoadAlgorithmE1EdEvPT3_S3_,"axG",@progbits,_Z16warp_load_kernelILj256ELj16ELj64ELN6hipcub17WarpLoadAlgorithmE1EdEvPT3_S3_,comdat
.Lfunc_end65:
	.size	_Z16warp_load_kernelILj256ELj16ELj64ELN6hipcub17WarpLoadAlgorithmE1EdEvPT3_S3_, .Lfunc_end65-_Z16warp_load_kernelILj256ELj16ELj64ELN6hipcub17WarpLoadAlgorithmE1EdEvPT3_S3_
                                        ; -- End function
	.section	.AMDGPU.csdata,"",@progbits
; Kernel info:
; codeLenInByte = 4
; NumSgprs: 0
; NumVgprs: 0
; ScratchSize: 0
; MemoryBound: 0
; FloatMode: 240
; IeeeMode: 1
; LDSByteSize: 0 bytes/workgroup (compile time only)
; SGPRBlocks: 0
; VGPRBlocks: 0
; NumSGPRsForWavesPerEU: 1
; NumVGPRsForWavesPerEU: 1
; Occupancy: 16
; WaveLimiterHint : 0
; COMPUTE_PGM_RSRC2:SCRATCH_EN: 0
; COMPUTE_PGM_RSRC2:USER_SGPR: 15
; COMPUTE_PGM_RSRC2:TRAP_HANDLER: 0
; COMPUTE_PGM_RSRC2:TGID_X_EN: 1
; COMPUTE_PGM_RSRC2:TGID_Y_EN: 0
; COMPUTE_PGM_RSRC2:TGID_Z_EN: 0
; COMPUTE_PGM_RSRC2:TIDIG_COMP_CNT: 0
	.section	.text._Z16warp_load_kernelILj256ELj16ELj64ELN6hipcub17WarpLoadAlgorithmE2EdEvPT3_S3_,"axG",@progbits,_Z16warp_load_kernelILj256ELj16ELj64ELN6hipcub17WarpLoadAlgorithmE2EdEvPT3_S3_,comdat
	.protected	_Z16warp_load_kernelILj256ELj16ELj64ELN6hipcub17WarpLoadAlgorithmE2EdEvPT3_S3_ ; -- Begin function _Z16warp_load_kernelILj256ELj16ELj64ELN6hipcub17WarpLoadAlgorithmE2EdEvPT3_S3_
	.globl	_Z16warp_load_kernelILj256ELj16ELj64ELN6hipcub17WarpLoadAlgorithmE2EdEvPT3_S3_
	.p2align	8
	.type	_Z16warp_load_kernelILj256ELj16ELj64ELN6hipcub17WarpLoadAlgorithmE2EdEvPT3_S3_,@function
_Z16warp_load_kernelILj256ELj16ELj64ELN6hipcub17WarpLoadAlgorithmE2EdEvPT3_S3_: ; @_Z16warp_load_kernelILj256ELj16ELj64ELN6hipcub17WarpLoadAlgorithmE2EdEvPT3_S3_
; %bb.0:
	s_endpgm
	.section	.rodata,"a",@progbits
	.p2align	6, 0x0
	.amdhsa_kernel _Z16warp_load_kernelILj256ELj16ELj64ELN6hipcub17WarpLoadAlgorithmE2EdEvPT3_S3_
		.amdhsa_group_segment_fixed_size 0
		.amdhsa_private_segment_fixed_size 0
		.amdhsa_kernarg_size 16
		.amdhsa_user_sgpr_count 15
		.amdhsa_user_sgpr_dispatch_ptr 0
		.amdhsa_user_sgpr_queue_ptr 0
		.amdhsa_user_sgpr_kernarg_segment_ptr 1
		.amdhsa_user_sgpr_dispatch_id 0
		.amdhsa_user_sgpr_private_segment_size 0
		.amdhsa_wavefront_size32 1
		.amdhsa_uses_dynamic_stack 0
		.amdhsa_enable_private_segment 0
		.amdhsa_system_sgpr_workgroup_id_x 1
		.amdhsa_system_sgpr_workgroup_id_y 0
		.amdhsa_system_sgpr_workgroup_id_z 0
		.amdhsa_system_sgpr_workgroup_info 0
		.amdhsa_system_vgpr_workitem_id 0
		.amdhsa_next_free_vgpr 1
		.amdhsa_next_free_sgpr 1
		.amdhsa_reserve_vcc 0
		.amdhsa_float_round_mode_32 0
		.amdhsa_float_round_mode_16_64 0
		.amdhsa_float_denorm_mode_32 3
		.amdhsa_float_denorm_mode_16_64 3
		.amdhsa_dx10_clamp 1
		.amdhsa_ieee_mode 1
		.amdhsa_fp16_overflow 0
		.amdhsa_workgroup_processor_mode 1
		.amdhsa_memory_ordered 1
		.amdhsa_forward_progress 0
		.amdhsa_shared_vgpr_count 0
		.amdhsa_exception_fp_ieee_invalid_op 0
		.amdhsa_exception_fp_denorm_src 0
		.amdhsa_exception_fp_ieee_div_zero 0
		.amdhsa_exception_fp_ieee_overflow 0
		.amdhsa_exception_fp_ieee_underflow 0
		.amdhsa_exception_fp_ieee_inexact 0
		.amdhsa_exception_int_div_zero 0
	.end_amdhsa_kernel
	.section	.text._Z16warp_load_kernelILj256ELj16ELj64ELN6hipcub17WarpLoadAlgorithmE2EdEvPT3_S3_,"axG",@progbits,_Z16warp_load_kernelILj256ELj16ELj64ELN6hipcub17WarpLoadAlgorithmE2EdEvPT3_S3_,comdat
.Lfunc_end66:
	.size	_Z16warp_load_kernelILj256ELj16ELj64ELN6hipcub17WarpLoadAlgorithmE2EdEvPT3_S3_, .Lfunc_end66-_Z16warp_load_kernelILj256ELj16ELj64ELN6hipcub17WarpLoadAlgorithmE2EdEvPT3_S3_
                                        ; -- End function
	.section	.AMDGPU.csdata,"",@progbits
; Kernel info:
; codeLenInByte = 4
; NumSgprs: 0
; NumVgprs: 0
; ScratchSize: 0
; MemoryBound: 0
; FloatMode: 240
; IeeeMode: 1
; LDSByteSize: 0 bytes/workgroup (compile time only)
; SGPRBlocks: 0
; VGPRBlocks: 0
; NumSGPRsForWavesPerEU: 1
; NumVGPRsForWavesPerEU: 1
; Occupancy: 16
; WaveLimiterHint : 0
; COMPUTE_PGM_RSRC2:SCRATCH_EN: 0
; COMPUTE_PGM_RSRC2:USER_SGPR: 15
; COMPUTE_PGM_RSRC2:TRAP_HANDLER: 0
; COMPUTE_PGM_RSRC2:TGID_X_EN: 1
; COMPUTE_PGM_RSRC2:TGID_Y_EN: 0
; COMPUTE_PGM_RSRC2:TGID_Z_EN: 0
; COMPUTE_PGM_RSRC2:TIDIG_COMP_CNT: 0
	.section	.text._Z16warp_load_kernelILj256ELj32ELj64ELN6hipcub17WarpLoadAlgorithmE0EdEvPT3_S3_,"axG",@progbits,_Z16warp_load_kernelILj256ELj32ELj64ELN6hipcub17WarpLoadAlgorithmE0EdEvPT3_S3_,comdat
	.protected	_Z16warp_load_kernelILj256ELj32ELj64ELN6hipcub17WarpLoadAlgorithmE0EdEvPT3_S3_ ; -- Begin function _Z16warp_load_kernelILj256ELj32ELj64ELN6hipcub17WarpLoadAlgorithmE0EdEvPT3_S3_
	.globl	_Z16warp_load_kernelILj256ELj32ELj64ELN6hipcub17WarpLoadAlgorithmE0EdEvPT3_S3_
	.p2align	8
	.type	_Z16warp_load_kernelILj256ELj32ELj64ELN6hipcub17WarpLoadAlgorithmE0EdEvPT3_S3_,@function
_Z16warp_load_kernelILj256ELj32ELj64ELN6hipcub17WarpLoadAlgorithmE0EdEvPT3_S3_: ; @_Z16warp_load_kernelILj256ELj32ELj64ELN6hipcub17WarpLoadAlgorithmE0EdEvPT3_S3_
; %bb.0:
	s_endpgm
	.section	.rodata,"a",@progbits
	.p2align	6, 0x0
	.amdhsa_kernel _Z16warp_load_kernelILj256ELj32ELj64ELN6hipcub17WarpLoadAlgorithmE0EdEvPT3_S3_
		.amdhsa_group_segment_fixed_size 0
		.amdhsa_private_segment_fixed_size 0
		.amdhsa_kernarg_size 16
		.amdhsa_user_sgpr_count 15
		.amdhsa_user_sgpr_dispatch_ptr 0
		.amdhsa_user_sgpr_queue_ptr 0
		.amdhsa_user_sgpr_kernarg_segment_ptr 1
		.amdhsa_user_sgpr_dispatch_id 0
		.amdhsa_user_sgpr_private_segment_size 0
		.amdhsa_wavefront_size32 1
		.amdhsa_uses_dynamic_stack 0
		.amdhsa_enable_private_segment 0
		.amdhsa_system_sgpr_workgroup_id_x 1
		.amdhsa_system_sgpr_workgroup_id_y 0
		.amdhsa_system_sgpr_workgroup_id_z 0
		.amdhsa_system_sgpr_workgroup_info 0
		.amdhsa_system_vgpr_workitem_id 0
		.amdhsa_next_free_vgpr 1
		.amdhsa_next_free_sgpr 1
		.amdhsa_reserve_vcc 0
		.amdhsa_float_round_mode_32 0
		.amdhsa_float_round_mode_16_64 0
		.amdhsa_float_denorm_mode_32 3
		.amdhsa_float_denorm_mode_16_64 3
		.amdhsa_dx10_clamp 1
		.amdhsa_ieee_mode 1
		.amdhsa_fp16_overflow 0
		.amdhsa_workgroup_processor_mode 1
		.amdhsa_memory_ordered 1
		.amdhsa_forward_progress 0
		.amdhsa_shared_vgpr_count 0
		.amdhsa_exception_fp_ieee_invalid_op 0
		.amdhsa_exception_fp_denorm_src 0
		.amdhsa_exception_fp_ieee_div_zero 0
		.amdhsa_exception_fp_ieee_overflow 0
		.amdhsa_exception_fp_ieee_underflow 0
		.amdhsa_exception_fp_ieee_inexact 0
		.amdhsa_exception_int_div_zero 0
	.end_amdhsa_kernel
	.section	.text._Z16warp_load_kernelILj256ELj32ELj64ELN6hipcub17WarpLoadAlgorithmE0EdEvPT3_S3_,"axG",@progbits,_Z16warp_load_kernelILj256ELj32ELj64ELN6hipcub17WarpLoadAlgorithmE0EdEvPT3_S3_,comdat
.Lfunc_end67:
	.size	_Z16warp_load_kernelILj256ELj32ELj64ELN6hipcub17WarpLoadAlgorithmE0EdEvPT3_S3_, .Lfunc_end67-_Z16warp_load_kernelILj256ELj32ELj64ELN6hipcub17WarpLoadAlgorithmE0EdEvPT3_S3_
                                        ; -- End function
	.section	.AMDGPU.csdata,"",@progbits
; Kernel info:
; codeLenInByte = 4
; NumSgprs: 0
; NumVgprs: 0
; ScratchSize: 0
; MemoryBound: 0
; FloatMode: 240
; IeeeMode: 1
; LDSByteSize: 0 bytes/workgroup (compile time only)
; SGPRBlocks: 0
; VGPRBlocks: 0
; NumSGPRsForWavesPerEU: 1
; NumVGPRsForWavesPerEU: 1
; Occupancy: 16
; WaveLimiterHint : 0
; COMPUTE_PGM_RSRC2:SCRATCH_EN: 0
; COMPUTE_PGM_RSRC2:USER_SGPR: 15
; COMPUTE_PGM_RSRC2:TRAP_HANDLER: 0
; COMPUTE_PGM_RSRC2:TGID_X_EN: 1
; COMPUTE_PGM_RSRC2:TGID_Y_EN: 0
; COMPUTE_PGM_RSRC2:TGID_Z_EN: 0
; COMPUTE_PGM_RSRC2:TIDIG_COMP_CNT: 0
	.section	.text._Z16warp_load_kernelILj256ELj32ELj64ELN6hipcub17WarpLoadAlgorithmE1EdEvPT3_S3_,"axG",@progbits,_Z16warp_load_kernelILj256ELj32ELj64ELN6hipcub17WarpLoadAlgorithmE1EdEvPT3_S3_,comdat
	.protected	_Z16warp_load_kernelILj256ELj32ELj64ELN6hipcub17WarpLoadAlgorithmE1EdEvPT3_S3_ ; -- Begin function _Z16warp_load_kernelILj256ELj32ELj64ELN6hipcub17WarpLoadAlgorithmE1EdEvPT3_S3_
	.globl	_Z16warp_load_kernelILj256ELj32ELj64ELN6hipcub17WarpLoadAlgorithmE1EdEvPT3_S3_
	.p2align	8
	.type	_Z16warp_load_kernelILj256ELj32ELj64ELN6hipcub17WarpLoadAlgorithmE1EdEvPT3_S3_,@function
_Z16warp_load_kernelILj256ELj32ELj64ELN6hipcub17WarpLoadAlgorithmE1EdEvPT3_S3_: ; @_Z16warp_load_kernelILj256ELj32ELj64ELN6hipcub17WarpLoadAlgorithmE1EdEvPT3_S3_
; %bb.0:
	s_endpgm
	.section	.rodata,"a",@progbits
	.p2align	6, 0x0
	.amdhsa_kernel _Z16warp_load_kernelILj256ELj32ELj64ELN6hipcub17WarpLoadAlgorithmE1EdEvPT3_S3_
		.amdhsa_group_segment_fixed_size 0
		.amdhsa_private_segment_fixed_size 0
		.amdhsa_kernarg_size 16
		.amdhsa_user_sgpr_count 15
		.amdhsa_user_sgpr_dispatch_ptr 0
		.amdhsa_user_sgpr_queue_ptr 0
		.amdhsa_user_sgpr_kernarg_segment_ptr 1
		.amdhsa_user_sgpr_dispatch_id 0
		.amdhsa_user_sgpr_private_segment_size 0
		.amdhsa_wavefront_size32 1
		.amdhsa_uses_dynamic_stack 0
		.amdhsa_enable_private_segment 0
		.amdhsa_system_sgpr_workgroup_id_x 1
		.amdhsa_system_sgpr_workgroup_id_y 0
		.amdhsa_system_sgpr_workgroup_id_z 0
		.amdhsa_system_sgpr_workgroup_info 0
		.amdhsa_system_vgpr_workitem_id 0
		.amdhsa_next_free_vgpr 1
		.amdhsa_next_free_sgpr 1
		.amdhsa_reserve_vcc 0
		.amdhsa_float_round_mode_32 0
		.amdhsa_float_round_mode_16_64 0
		.amdhsa_float_denorm_mode_32 3
		.amdhsa_float_denorm_mode_16_64 3
		.amdhsa_dx10_clamp 1
		.amdhsa_ieee_mode 1
		.amdhsa_fp16_overflow 0
		.amdhsa_workgroup_processor_mode 1
		.amdhsa_memory_ordered 1
		.amdhsa_forward_progress 0
		.amdhsa_shared_vgpr_count 0
		.amdhsa_exception_fp_ieee_invalid_op 0
		.amdhsa_exception_fp_denorm_src 0
		.amdhsa_exception_fp_ieee_div_zero 0
		.amdhsa_exception_fp_ieee_overflow 0
		.amdhsa_exception_fp_ieee_underflow 0
		.amdhsa_exception_fp_ieee_inexact 0
		.amdhsa_exception_int_div_zero 0
	.end_amdhsa_kernel
	.section	.text._Z16warp_load_kernelILj256ELj32ELj64ELN6hipcub17WarpLoadAlgorithmE1EdEvPT3_S3_,"axG",@progbits,_Z16warp_load_kernelILj256ELj32ELj64ELN6hipcub17WarpLoadAlgorithmE1EdEvPT3_S3_,comdat
.Lfunc_end68:
	.size	_Z16warp_load_kernelILj256ELj32ELj64ELN6hipcub17WarpLoadAlgorithmE1EdEvPT3_S3_, .Lfunc_end68-_Z16warp_load_kernelILj256ELj32ELj64ELN6hipcub17WarpLoadAlgorithmE1EdEvPT3_S3_
                                        ; -- End function
	.section	.AMDGPU.csdata,"",@progbits
; Kernel info:
; codeLenInByte = 4
; NumSgprs: 0
; NumVgprs: 0
; ScratchSize: 0
; MemoryBound: 0
; FloatMode: 240
; IeeeMode: 1
; LDSByteSize: 0 bytes/workgroup (compile time only)
; SGPRBlocks: 0
; VGPRBlocks: 0
; NumSGPRsForWavesPerEU: 1
; NumVGPRsForWavesPerEU: 1
; Occupancy: 16
; WaveLimiterHint : 0
; COMPUTE_PGM_RSRC2:SCRATCH_EN: 0
; COMPUTE_PGM_RSRC2:USER_SGPR: 15
; COMPUTE_PGM_RSRC2:TRAP_HANDLER: 0
; COMPUTE_PGM_RSRC2:TGID_X_EN: 1
; COMPUTE_PGM_RSRC2:TGID_Y_EN: 0
; COMPUTE_PGM_RSRC2:TGID_Z_EN: 0
; COMPUTE_PGM_RSRC2:TIDIG_COMP_CNT: 0
	.section	.text._Z16warp_load_kernelILj256ELj32ELj64ELN6hipcub17WarpLoadAlgorithmE2EdEvPT3_S3_,"axG",@progbits,_Z16warp_load_kernelILj256ELj32ELj64ELN6hipcub17WarpLoadAlgorithmE2EdEvPT3_S3_,comdat
	.protected	_Z16warp_load_kernelILj256ELj32ELj64ELN6hipcub17WarpLoadAlgorithmE2EdEvPT3_S3_ ; -- Begin function _Z16warp_load_kernelILj256ELj32ELj64ELN6hipcub17WarpLoadAlgorithmE2EdEvPT3_S3_
	.globl	_Z16warp_load_kernelILj256ELj32ELj64ELN6hipcub17WarpLoadAlgorithmE2EdEvPT3_S3_
	.p2align	8
	.type	_Z16warp_load_kernelILj256ELj32ELj64ELN6hipcub17WarpLoadAlgorithmE2EdEvPT3_S3_,@function
_Z16warp_load_kernelILj256ELj32ELj64ELN6hipcub17WarpLoadAlgorithmE2EdEvPT3_S3_: ; @_Z16warp_load_kernelILj256ELj32ELj64ELN6hipcub17WarpLoadAlgorithmE2EdEvPT3_S3_
; %bb.0:
	s_endpgm
	.section	.rodata,"a",@progbits
	.p2align	6, 0x0
	.amdhsa_kernel _Z16warp_load_kernelILj256ELj32ELj64ELN6hipcub17WarpLoadAlgorithmE2EdEvPT3_S3_
		.amdhsa_group_segment_fixed_size 0
		.amdhsa_private_segment_fixed_size 0
		.amdhsa_kernarg_size 16
		.amdhsa_user_sgpr_count 15
		.amdhsa_user_sgpr_dispatch_ptr 0
		.amdhsa_user_sgpr_queue_ptr 0
		.amdhsa_user_sgpr_kernarg_segment_ptr 1
		.amdhsa_user_sgpr_dispatch_id 0
		.amdhsa_user_sgpr_private_segment_size 0
		.amdhsa_wavefront_size32 1
		.amdhsa_uses_dynamic_stack 0
		.amdhsa_enable_private_segment 0
		.amdhsa_system_sgpr_workgroup_id_x 1
		.amdhsa_system_sgpr_workgroup_id_y 0
		.amdhsa_system_sgpr_workgroup_id_z 0
		.amdhsa_system_sgpr_workgroup_info 0
		.amdhsa_system_vgpr_workitem_id 0
		.amdhsa_next_free_vgpr 1
		.amdhsa_next_free_sgpr 1
		.amdhsa_reserve_vcc 0
		.amdhsa_float_round_mode_32 0
		.amdhsa_float_round_mode_16_64 0
		.amdhsa_float_denorm_mode_32 3
		.amdhsa_float_denorm_mode_16_64 3
		.amdhsa_dx10_clamp 1
		.amdhsa_ieee_mode 1
		.amdhsa_fp16_overflow 0
		.amdhsa_workgroup_processor_mode 1
		.amdhsa_memory_ordered 1
		.amdhsa_forward_progress 0
		.amdhsa_shared_vgpr_count 0
		.amdhsa_exception_fp_ieee_invalid_op 0
		.amdhsa_exception_fp_denorm_src 0
		.amdhsa_exception_fp_ieee_div_zero 0
		.amdhsa_exception_fp_ieee_overflow 0
		.amdhsa_exception_fp_ieee_underflow 0
		.amdhsa_exception_fp_ieee_inexact 0
		.amdhsa_exception_int_div_zero 0
	.end_amdhsa_kernel
	.section	.text._Z16warp_load_kernelILj256ELj32ELj64ELN6hipcub17WarpLoadAlgorithmE2EdEvPT3_S3_,"axG",@progbits,_Z16warp_load_kernelILj256ELj32ELj64ELN6hipcub17WarpLoadAlgorithmE2EdEvPT3_S3_,comdat
.Lfunc_end69:
	.size	_Z16warp_load_kernelILj256ELj32ELj64ELN6hipcub17WarpLoadAlgorithmE2EdEvPT3_S3_, .Lfunc_end69-_Z16warp_load_kernelILj256ELj32ELj64ELN6hipcub17WarpLoadAlgorithmE2EdEvPT3_S3_
                                        ; -- End function
	.section	.AMDGPU.csdata,"",@progbits
; Kernel info:
; codeLenInByte = 4
; NumSgprs: 0
; NumVgprs: 0
; ScratchSize: 0
; MemoryBound: 0
; FloatMode: 240
; IeeeMode: 1
; LDSByteSize: 0 bytes/workgroup (compile time only)
; SGPRBlocks: 0
; VGPRBlocks: 0
; NumSGPRsForWavesPerEU: 1
; NumVGPRsForWavesPerEU: 1
; Occupancy: 16
; WaveLimiterHint : 0
; COMPUTE_PGM_RSRC2:SCRATCH_EN: 0
; COMPUTE_PGM_RSRC2:USER_SGPR: 15
; COMPUTE_PGM_RSRC2:TRAP_HANDLER: 0
; COMPUTE_PGM_RSRC2:TGID_X_EN: 1
; COMPUTE_PGM_RSRC2:TGID_Y_EN: 0
; COMPUTE_PGM_RSRC2:TGID_Z_EN: 0
; COMPUTE_PGM_RSRC2:TIDIG_COMP_CNT: 0
	.section	.text._Z16warp_load_kernelILj256ELj64ELj64ELN6hipcub17WarpLoadAlgorithmE0EdEvPT3_S3_,"axG",@progbits,_Z16warp_load_kernelILj256ELj64ELj64ELN6hipcub17WarpLoadAlgorithmE0EdEvPT3_S3_,comdat
	.protected	_Z16warp_load_kernelILj256ELj64ELj64ELN6hipcub17WarpLoadAlgorithmE0EdEvPT3_S3_ ; -- Begin function _Z16warp_load_kernelILj256ELj64ELj64ELN6hipcub17WarpLoadAlgorithmE0EdEvPT3_S3_
	.globl	_Z16warp_load_kernelILj256ELj64ELj64ELN6hipcub17WarpLoadAlgorithmE0EdEvPT3_S3_
	.p2align	8
	.type	_Z16warp_load_kernelILj256ELj64ELj64ELN6hipcub17WarpLoadAlgorithmE0EdEvPT3_S3_,@function
_Z16warp_load_kernelILj256ELj64ELj64ELN6hipcub17WarpLoadAlgorithmE0EdEvPT3_S3_: ; @_Z16warp_load_kernelILj256ELj64ELj64ELN6hipcub17WarpLoadAlgorithmE0EdEvPT3_S3_
; %bb.0:
	s_endpgm
	.section	.rodata,"a",@progbits
	.p2align	6, 0x0
	.amdhsa_kernel _Z16warp_load_kernelILj256ELj64ELj64ELN6hipcub17WarpLoadAlgorithmE0EdEvPT3_S3_
		.amdhsa_group_segment_fixed_size 0
		.amdhsa_private_segment_fixed_size 0
		.amdhsa_kernarg_size 16
		.amdhsa_user_sgpr_count 15
		.amdhsa_user_sgpr_dispatch_ptr 0
		.amdhsa_user_sgpr_queue_ptr 0
		.amdhsa_user_sgpr_kernarg_segment_ptr 1
		.amdhsa_user_sgpr_dispatch_id 0
		.amdhsa_user_sgpr_private_segment_size 0
		.amdhsa_wavefront_size32 1
		.amdhsa_uses_dynamic_stack 0
		.amdhsa_enable_private_segment 0
		.amdhsa_system_sgpr_workgroup_id_x 1
		.amdhsa_system_sgpr_workgroup_id_y 0
		.amdhsa_system_sgpr_workgroup_id_z 0
		.amdhsa_system_sgpr_workgroup_info 0
		.amdhsa_system_vgpr_workitem_id 0
		.amdhsa_next_free_vgpr 1
		.amdhsa_next_free_sgpr 1
		.amdhsa_reserve_vcc 0
		.amdhsa_float_round_mode_32 0
		.amdhsa_float_round_mode_16_64 0
		.amdhsa_float_denorm_mode_32 3
		.amdhsa_float_denorm_mode_16_64 3
		.amdhsa_dx10_clamp 1
		.amdhsa_ieee_mode 1
		.amdhsa_fp16_overflow 0
		.amdhsa_workgroup_processor_mode 1
		.amdhsa_memory_ordered 1
		.amdhsa_forward_progress 0
		.amdhsa_shared_vgpr_count 0
		.amdhsa_exception_fp_ieee_invalid_op 0
		.amdhsa_exception_fp_denorm_src 0
		.amdhsa_exception_fp_ieee_div_zero 0
		.amdhsa_exception_fp_ieee_overflow 0
		.amdhsa_exception_fp_ieee_underflow 0
		.amdhsa_exception_fp_ieee_inexact 0
		.amdhsa_exception_int_div_zero 0
	.end_amdhsa_kernel
	.section	.text._Z16warp_load_kernelILj256ELj64ELj64ELN6hipcub17WarpLoadAlgorithmE0EdEvPT3_S3_,"axG",@progbits,_Z16warp_load_kernelILj256ELj64ELj64ELN6hipcub17WarpLoadAlgorithmE0EdEvPT3_S3_,comdat
.Lfunc_end70:
	.size	_Z16warp_load_kernelILj256ELj64ELj64ELN6hipcub17WarpLoadAlgorithmE0EdEvPT3_S3_, .Lfunc_end70-_Z16warp_load_kernelILj256ELj64ELj64ELN6hipcub17WarpLoadAlgorithmE0EdEvPT3_S3_
                                        ; -- End function
	.section	.AMDGPU.csdata,"",@progbits
; Kernel info:
; codeLenInByte = 4
; NumSgprs: 0
; NumVgprs: 0
; ScratchSize: 0
; MemoryBound: 0
; FloatMode: 240
; IeeeMode: 1
; LDSByteSize: 0 bytes/workgroup (compile time only)
; SGPRBlocks: 0
; VGPRBlocks: 0
; NumSGPRsForWavesPerEU: 1
; NumVGPRsForWavesPerEU: 1
; Occupancy: 16
; WaveLimiterHint : 0
; COMPUTE_PGM_RSRC2:SCRATCH_EN: 0
; COMPUTE_PGM_RSRC2:USER_SGPR: 15
; COMPUTE_PGM_RSRC2:TRAP_HANDLER: 0
; COMPUTE_PGM_RSRC2:TGID_X_EN: 1
; COMPUTE_PGM_RSRC2:TGID_Y_EN: 0
; COMPUTE_PGM_RSRC2:TGID_Z_EN: 0
; COMPUTE_PGM_RSRC2:TIDIG_COMP_CNT: 0
	.section	.text._Z16warp_load_kernelILj256ELj64ELj64ELN6hipcub17WarpLoadAlgorithmE1EdEvPT3_S3_,"axG",@progbits,_Z16warp_load_kernelILj256ELj64ELj64ELN6hipcub17WarpLoadAlgorithmE1EdEvPT3_S3_,comdat
	.protected	_Z16warp_load_kernelILj256ELj64ELj64ELN6hipcub17WarpLoadAlgorithmE1EdEvPT3_S3_ ; -- Begin function _Z16warp_load_kernelILj256ELj64ELj64ELN6hipcub17WarpLoadAlgorithmE1EdEvPT3_S3_
	.globl	_Z16warp_load_kernelILj256ELj64ELj64ELN6hipcub17WarpLoadAlgorithmE1EdEvPT3_S3_
	.p2align	8
	.type	_Z16warp_load_kernelILj256ELj64ELj64ELN6hipcub17WarpLoadAlgorithmE1EdEvPT3_S3_,@function
_Z16warp_load_kernelILj256ELj64ELj64ELN6hipcub17WarpLoadAlgorithmE1EdEvPT3_S3_: ; @_Z16warp_load_kernelILj256ELj64ELj64ELN6hipcub17WarpLoadAlgorithmE1EdEvPT3_S3_
; %bb.0:
	s_endpgm
	.section	.rodata,"a",@progbits
	.p2align	6, 0x0
	.amdhsa_kernel _Z16warp_load_kernelILj256ELj64ELj64ELN6hipcub17WarpLoadAlgorithmE1EdEvPT3_S3_
		.amdhsa_group_segment_fixed_size 0
		.amdhsa_private_segment_fixed_size 0
		.amdhsa_kernarg_size 16
		.amdhsa_user_sgpr_count 15
		.amdhsa_user_sgpr_dispatch_ptr 0
		.amdhsa_user_sgpr_queue_ptr 0
		.amdhsa_user_sgpr_kernarg_segment_ptr 1
		.amdhsa_user_sgpr_dispatch_id 0
		.amdhsa_user_sgpr_private_segment_size 0
		.amdhsa_wavefront_size32 1
		.amdhsa_uses_dynamic_stack 0
		.amdhsa_enable_private_segment 0
		.amdhsa_system_sgpr_workgroup_id_x 1
		.amdhsa_system_sgpr_workgroup_id_y 0
		.amdhsa_system_sgpr_workgroup_id_z 0
		.amdhsa_system_sgpr_workgroup_info 0
		.amdhsa_system_vgpr_workitem_id 0
		.amdhsa_next_free_vgpr 1
		.amdhsa_next_free_sgpr 1
		.amdhsa_reserve_vcc 0
		.amdhsa_float_round_mode_32 0
		.amdhsa_float_round_mode_16_64 0
		.amdhsa_float_denorm_mode_32 3
		.amdhsa_float_denorm_mode_16_64 3
		.amdhsa_dx10_clamp 1
		.amdhsa_ieee_mode 1
		.amdhsa_fp16_overflow 0
		.amdhsa_workgroup_processor_mode 1
		.amdhsa_memory_ordered 1
		.amdhsa_forward_progress 0
		.amdhsa_shared_vgpr_count 0
		.amdhsa_exception_fp_ieee_invalid_op 0
		.amdhsa_exception_fp_denorm_src 0
		.amdhsa_exception_fp_ieee_div_zero 0
		.amdhsa_exception_fp_ieee_overflow 0
		.amdhsa_exception_fp_ieee_underflow 0
		.amdhsa_exception_fp_ieee_inexact 0
		.amdhsa_exception_int_div_zero 0
	.end_amdhsa_kernel
	.section	.text._Z16warp_load_kernelILj256ELj64ELj64ELN6hipcub17WarpLoadAlgorithmE1EdEvPT3_S3_,"axG",@progbits,_Z16warp_load_kernelILj256ELj64ELj64ELN6hipcub17WarpLoadAlgorithmE1EdEvPT3_S3_,comdat
.Lfunc_end71:
	.size	_Z16warp_load_kernelILj256ELj64ELj64ELN6hipcub17WarpLoadAlgorithmE1EdEvPT3_S3_, .Lfunc_end71-_Z16warp_load_kernelILj256ELj64ELj64ELN6hipcub17WarpLoadAlgorithmE1EdEvPT3_S3_
                                        ; -- End function
	.section	.AMDGPU.csdata,"",@progbits
; Kernel info:
; codeLenInByte = 4
; NumSgprs: 0
; NumVgprs: 0
; ScratchSize: 0
; MemoryBound: 0
; FloatMode: 240
; IeeeMode: 1
; LDSByteSize: 0 bytes/workgroup (compile time only)
; SGPRBlocks: 0
; VGPRBlocks: 0
; NumSGPRsForWavesPerEU: 1
; NumVGPRsForWavesPerEU: 1
; Occupancy: 16
; WaveLimiterHint : 0
; COMPUTE_PGM_RSRC2:SCRATCH_EN: 0
; COMPUTE_PGM_RSRC2:USER_SGPR: 15
; COMPUTE_PGM_RSRC2:TRAP_HANDLER: 0
; COMPUTE_PGM_RSRC2:TGID_X_EN: 1
; COMPUTE_PGM_RSRC2:TGID_Y_EN: 0
; COMPUTE_PGM_RSRC2:TGID_Z_EN: 0
; COMPUTE_PGM_RSRC2:TIDIG_COMP_CNT: 0
	.section	.text._Z16warp_load_kernelILj256ELj64ELj64ELN6hipcub17WarpLoadAlgorithmE2EdEvPT3_S3_,"axG",@progbits,_Z16warp_load_kernelILj256ELj64ELj64ELN6hipcub17WarpLoadAlgorithmE2EdEvPT3_S3_,comdat
	.protected	_Z16warp_load_kernelILj256ELj64ELj64ELN6hipcub17WarpLoadAlgorithmE2EdEvPT3_S3_ ; -- Begin function _Z16warp_load_kernelILj256ELj64ELj64ELN6hipcub17WarpLoadAlgorithmE2EdEvPT3_S3_
	.globl	_Z16warp_load_kernelILj256ELj64ELj64ELN6hipcub17WarpLoadAlgorithmE2EdEvPT3_S3_
	.p2align	8
	.type	_Z16warp_load_kernelILj256ELj64ELj64ELN6hipcub17WarpLoadAlgorithmE2EdEvPT3_S3_,@function
_Z16warp_load_kernelILj256ELj64ELj64ELN6hipcub17WarpLoadAlgorithmE2EdEvPT3_S3_: ; @_Z16warp_load_kernelILj256ELj64ELj64ELN6hipcub17WarpLoadAlgorithmE2EdEvPT3_S3_
; %bb.0:
	s_endpgm
	.section	.rodata,"a",@progbits
	.p2align	6, 0x0
	.amdhsa_kernel _Z16warp_load_kernelILj256ELj64ELj64ELN6hipcub17WarpLoadAlgorithmE2EdEvPT3_S3_
		.amdhsa_group_segment_fixed_size 0
		.amdhsa_private_segment_fixed_size 0
		.amdhsa_kernarg_size 16
		.amdhsa_user_sgpr_count 15
		.amdhsa_user_sgpr_dispatch_ptr 0
		.amdhsa_user_sgpr_queue_ptr 0
		.amdhsa_user_sgpr_kernarg_segment_ptr 1
		.amdhsa_user_sgpr_dispatch_id 0
		.amdhsa_user_sgpr_private_segment_size 0
		.amdhsa_wavefront_size32 1
		.amdhsa_uses_dynamic_stack 0
		.amdhsa_enable_private_segment 0
		.amdhsa_system_sgpr_workgroup_id_x 1
		.amdhsa_system_sgpr_workgroup_id_y 0
		.amdhsa_system_sgpr_workgroup_id_z 0
		.amdhsa_system_sgpr_workgroup_info 0
		.amdhsa_system_vgpr_workitem_id 0
		.amdhsa_next_free_vgpr 1
		.amdhsa_next_free_sgpr 1
		.amdhsa_reserve_vcc 0
		.amdhsa_float_round_mode_32 0
		.amdhsa_float_round_mode_16_64 0
		.amdhsa_float_denorm_mode_32 3
		.amdhsa_float_denorm_mode_16_64 3
		.amdhsa_dx10_clamp 1
		.amdhsa_ieee_mode 1
		.amdhsa_fp16_overflow 0
		.amdhsa_workgroup_processor_mode 1
		.amdhsa_memory_ordered 1
		.amdhsa_forward_progress 0
		.amdhsa_shared_vgpr_count 0
		.amdhsa_exception_fp_ieee_invalid_op 0
		.amdhsa_exception_fp_denorm_src 0
		.amdhsa_exception_fp_ieee_div_zero 0
		.amdhsa_exception_fp_ieee_overflow 0
		.amdhsa_exception_fp_ieee_underflow 0
		.amdhsa_exception_fp_ieee_inexact 0
		.amdhsa_exception_int_div_zero 0
	.end_amdhsa_kernel
	.section	.text._Z16warp_load_kernelILj256ELj64ELj64ELN6hipcub17WarpLoadAlgorithmE2EdEvPT3_S3_,"axG",@progbits,_Z16warp_load_kernelILj256ELj64ELj64ELN6hipcub17WarpLoadAlgorithmE2EdEvPT3_S3_,comdat
.Lfunc_end72:
	.size	_Z16warp_load_kernelILj256ELj64ELj64ELN6hipcub17WarpLoadAlgorithmE2EdEvPT3_S3_, .Lfunc_end72-_Z16warp_load_kernelILj256ELj64ELj64ELN6hipcub17WarpLoadAlgorithmE2EdEvPT3_S3_
                                        ; -- End function
	.section	.AMDGPU.csdata,"",@progbits
; Kernel info:
; codeLenInByte = 4
; NumSgprs: 0
; NumVgprs: 0
; ScratchSize: 0
; MemoryBound: 0
; FloatMode: 240
; IeeeMode: 1
; LDSByteSize: 0 bytes/workgroup (compile time only)
; SGPRBlocks: 0
; VGPRBlocks: 0
; NumSGPRsForWavesPerEU: 1
; NumVGPRsForWavesPerEU: 1
; Occupancy: 16
; WaveLimiterHint : 0
; COMPUTE_PGM_RSRC2:SCRATCH_EN: 0
; COMPUTE_PGM_RSRC2:USER_SGPR: 15
; COMPUTE_PGM_RSRC2:TRAP_HANDLER: 0
; COMPUTE_PGM_RSRC2:TGID_X_EN: 1
; COMPUTE_PGM_RSRC2:TGID_Y_EN: 0
; COMPUTE_PGM_RSRC2:TGID_Z_EN: 0
; COMPUTE_PGM_RSRC2:TIDIG_COMP_CNT: 0
	.text
	.p2alignl 7, 3214868480
	.fill 96, 4, 3214868480
	.type	__hip_cuid_788e4a34011c5ff,@object ; @__hip_cuid_788e4a34011c5ff
	.section	.bss,"aw",@nobits
	.globl	__hip_cuid_788e4a34011c5ff
__hip_cuid_788e4a34011c5ff:
	.byte	0                               ; 0x0
	.size	__hip_cuid_788e4a34011c5ff, 1

	.ident	"AMD clang version 19.0.0git (https://github.com/RadeonOpenCompute/llvm-project roc-6.4.0 25133 c7fe45cf4b819c5991fe208aaa96edf142730f1d)"
	.section	".note.GNU-stack","",@progbits
	.addrsig
	.addrsig_sym __hip_cuid_788e4a34011c5ff
	.amdgpu_metadata
---
amdhsa.kernels:
  - .args:
      - .address_space:  global
        .offset:         0
        .size:           8
        .value_kind:     global_buffer
      - .address_space:  global
        .offset:         8
        .size:           8
        .value_kind:     global_buffer
    .group_segment_fixed_size: 0
    .kernarg_segment_align: 8
    .kernarg_segment_size: 16
    .language:       OpenCL C
    .language_version:
      - 2
      - 0
    .max_flat_workgroup_size: 256
    .name:           _Z16warp_load_kernelILj256ELj4ELj32ELN6hipcub17WarpLoadAlgorithmE0EiEvPT3_S3_
    .private_segment_fixed_size: 0
    .sgpr_count:     18
    .sgpr_spill_count: 0
    .symbol:         _Z16warp_load_kernelILj256ELj4ELj32ELN6hipcub17WarpLoadAlgorithmE0EiEvPT3_S3_.kd
    .uniform_work_group_size: 1
    .uses_dynamic_stack: false
    .vgpr_count:     13
    .vgpr_spill_count: 0
    .wavefront_size: 32
    .workgroup_processor_mode: 1
  - .args:
      - .address_space:  global
        .offset:         0
        .size:           8
        .value_kind:     global_buffer
      - .address_space:  global
        .offset:         8
        .size:           8
        .value_kind:     global_buffer
    .group_segment_fixed_size: 0
    .kernarg_segment_align: 8
    .kernarg_segment_size: 16
    .language:       OpenCL C
    .language_version:
      - 2
      - 0
    .max_flat_workgroup_size: 256
    .name:           _Z16warp_load_kernelILj256ELj4ELj32ELN6hipcub17WarpLoadAlgorithmE1EiEvPT3_S3_
    .private_segment_fixed_size: 0
    .sgpr_count:     18
    .sgpr_spill_count: 0
    .symbol:         _Z16warp_load_kernelILj256ELj4ELj32ELN6hipcub17WarpLoadAlgorithmE1EiEvPT3_S3_.kd
    .uniform_work_group_size: 1
    .uses_dynamic_stack: false
    .vgpr_count:     13
    .vgpr_spill_count: 0
    .wavefront_size: 32
    .workgroup_processor_mode: 1
  - .args:
      - .address_space:  global
        .offset:         0
        .size:           8
        .value_kind:     global_buffer
      - .address_space:  global
        .offset:         8
        .size:           8
        .value_kind:     global_buffer
    .group_segment_fixed_size: 0
    .kernarg_segment_align: 8
    .kernarg_segment_size: 16
    .language:       OpenCL C
    .language_version:
      - 2
      - 0
    .max_flat_workgroup_size: 256
    .name:           _Z16warp_load_kernelILj256ELj4ELj32ELN6hipcub17WarpLoadAlgorithmE2EiEvPT3_S3_
    .private_segment_fixed_size: 0
    .sgpr_count:     18
    .sgpr_spill_count: 0
    .symbol:         _Z16warp_load_kernelILj256ELj4ELj32ELN6hipcub17WarpLoadAlgorithmE2EiEvPT3_S3_.kd
    .uniform_work_group_size: 1
    .uses_dynamic_stack: false
    .vgpr_count:     13
    .vgpr_spill_count: 0
    .wavefront_size: 32
    .workgroup_processor_mode: 1
  - .args:
      - .address_space:  global
        .offset:         0
        .size:           8
        .value_kind:     global_buffer
      - .address_space:  global
        .offset:         8
        .size:           8
        .value_kind:     global_buffer
    .group_segment_fixed_size: 4096
    .kernarg_segment_align: 8
    .kernarg_segment_size: 16
    .language:       OpenCL C
    .language_version:
      - 2
      - 0
    .max_flat_workgroup_size: 256
    .name:           _Z16warp_load_kernelILj256ELj4ELj32ELN6hipcub17WarpLoadAlgorithmE3EiEvPT3_S3_
    .private_segment_fixed_size: 0
    .sgpr_count:     18
    .sgpr_spill_count: 0
    .symbol:         _Z16warp_load_kernelILj256ELj4ELj32ELN6hipcub17WarpLoadAlgorithmE3EiEvPT3_S3_.kd
    .uniform_work_group_size: 1
    .uses_dynamic_stack: false
    .vgpr_count:     16
    .vgpr_spill_count: 0
    .wavefront_size: 32
    .workgroup_processor_mode: 1
  - .args:
      - .address_space:  global
        .offset:         0
        .size:           8
        .value_kind:     global_buffer
      - .address_space:  global
        .offset:         8
        .size:           8
        .value_kind:     global_buffer
    .group_segment_fixed_size: 0
    .kernarg_segment_align: 8
    .kernarg_segment_size: 16
    .language:       OpenCL C
    .language_version:
      - 2
      - 0
    .max_flat_workgroup_size: 256
    .name:           _Z16warp_load_kernelILj256ELj8ELj32ELN6hipcub17WarpLoadAlgorithmE0EiEvPT3_S3_
    .private_segment_fixed_size: 0
    .sgpr_count:     18
    .sgpr_spill_count: 0
    .symbol:         _Z16warp_load_kernelILj256ELj8ELj32ELN6hipcub17WarpLoadAlgorithmE0EiEvPT3_S3_.kd
    .uniform_work_group_size: 1
    .uses_dynamic_stack: false
    .vgpr_count:     19
    .vgpr_spill_count: 0
    .wavefront_size: 32
    .workgroup_processor_mode: 1
  - .args:
      - .address_space:  global
        .offset:         0
        .size:           8
        .value_kind:     global_buffer
      - .address_space:  global
        .offset:         8
        .size:           8
        .value_kind:     global_buffer
    .group_segment_fixed_size: 0
    .kernarg_segment_align: 8
    .kernarg_segment_size: 16
    .language:       OpenCL C
    .language_version:
      - 2
      - 0
    .max_flat_workgroup_size: 256
    .name:           _Z16warp_load_kernelILj256ELj8ELj32ELN6hipcub17WarpLoadAlgorithmE1EiEvPT3_S3_
    .private_segment_fixed_size: 0
    .sgpr_count:     18
    .sgpr_spill_count: 0
    .symbol:         _Z16warp_load_kernelILj256ELj8ELj32ELN6hipcub17WarpLoadAlgorithmE1EiEvPT3_S3_.kd
    .uniform_work_group_size: 1
    .uses_dynamic_stack: false
    .vgpr_count:     19
    .vgpr_spill_count: 0
    .wavefront_size: 32
    .workgroup_processor_mode: 1
  - .args:
      - .address_space:  global
        .offset:         0
        .size:           8
        .value_kind:     global_buffer
      - .address_space:  global
        .offset:         8
        .size:           8
        .value_kind:     global_buffer
    .group_segment_fixed_size: 0
    .kernarg_segment_align: 8
    .kernarg_segment_size: 16
    .language:       OpenCL C
    .language_version:
      - 2
      - 0
    .max_flat_workgroup_size: 256
    .name:           _Z16warp_load_kernelILj256ELj8ELj32ELN6hipcub17WarpLoadAlgorithmE2EiEvPT3_S3_
    .private_segment_fixed_size: 0
    .sgpr_count:     18
    .sgpr_spill_count: 0
    .symbol:         _Z16warp_load_kernelILj256ELj8ELj32ELN6hipcub17WarpLoadAlgorithmE2EiEvPT3_S3_.kd
    .uniform_work_group_size: 1
    .uses_dynamic_stack: false
    .vgpr_count:     19
    .vgpr_spill_count: 0
    .wavefront_size: 32
    .workgroup_processor_mode: 1
  - .args:
      - .address_space:  global
        .offset:         0
        .size:           8
        .value_kind:     global_buffer
      - .address_space:  global
        .offset:         8
        .size:           8
        .value_kind:     global_buffer
    .group_segment_fixed_size: 8192
    .kernarg_segment_align: 8
    .kernarg_segment_size: 16
    .language:       OpenCL C
    .language_version:
      - 2
      - 0
    .max_flat_workgroup_size: 256
    .name:           _Z16warp_load_kernelILj256ELj8ELj32ELN6hipcub17WarpLoadAlgorithmE3EiEvPT3_S3_
    .private_segment_fixed_size: 0
    .sgpr_count:     18
    .sgpr_spill_count: 0
    .symbol:         _Z16warp_load_kernelILj256ELj8ELj32ELN6hipcub17WarpLoadAlgorithmE3EiEvPT3_S3_.kd
    .uniform_work_group_size: 1
    .uses_dynamic_stack: false
    .vgpr_count:     28
    .vgpr_spill_count: 0
    .wavefront_size: 32
    .workgroup_processor_mode: 1
  - .args:
      - .address_space:  global
        .offset:         0
        .size:           8
        .value_kind:     global_buffer
      - .address_space:  global
        .offset:         8
        .size:           8
        .value_kind:     global_buffer
    .group_segment_fixed_size: 0
    .kernarg_segment_align: 8
    .kernarg_segment_size: 16
    .language:       OpenCL C
    .language_version:
      - 2
      - 0
    .max_flat_workgroup_size: 256
    .name:           _Z16warp_load_kernelILj256ELj16ELj32ELN6hipcub17WarpLoadAlgorithmE0EiEvPT3_S3_
    .private_segment_fixed_size: 0
    .sgpr_count:     18
    .sgpr_spill_count: 0
    .symbol:         _Z16warp_load_kernelILj256ELj16ELj32ELN6hipcub17WarpLoadAlgorithmE0EiEvPT3_S3_.kd
    .uniform_work_group_size: 1
    .uses_dynamic_stack: false
    .vgpr_count:     43
    .vgpr_spill_count: 0
    .wavefront_size: 32
    .workgroup_processor_mode: 1
  - .args:
      - .address_space:  global
        .offset:         0
        .size:           8
        .value_kind:     global_buffer
      - .address_space:  global
        .offset:         8
        .size:           8
        .value_kind:     global_buffer
    .group_segment_fixed_size: 0
    .kernarg_segment_align: 8
    .kernarg_segment_size: 16
    .language:       OpenCL C
    .language_version:
      - 2
      - 0
    .max_flat_workgroup_size: 256
    .name:           _Z16warp_load_kernelILj256ELj16ELj32ELN6hipcub17WarpLoadAlgorithmE1EiEvPT3_S3_
    .private_segment_fixed_size: 0
    .sgpr_count:     18
    .sgpr_spill_count: 0
    .symbol:         _Z16warp_load_kernelILj256ELj16ELj32ELN6hipcub17WarpLoadAlgorithmE1EiEvPT3_S3_.kd
    .uniform_work_group_size: 1
    .uses_dynamic_stack: false
    .vgpr_count:     43
    .vgpr_spill_count: 0
    .wavefront_size: 32
    .workgroup_processor_mode: 1
  - .args:
      - .address_space:  global
        .offset:         0
        .size:           8
        .value_kind:     global_buffer
      - .address_space:  global
        .offset:         8
        .size:           8
        .value_kind:     global_buffer
    .group_segment_fixed_size: 0
    .kernarg_segment_align: 8
    .kernarg_segment_size: 16
    .language:       OpenCL C
    .language_version:
      - 2
      - 0
    .max_flat_workgroup_size: 256
    .name:           _Z16warp_load_kernelILj256ELj16ELj32ELN6hipcub17WarpLoadAlgorithmE2EiEvPT3_S3_
    .private_segment_fixed_size: 0
    .sgpr_count:     18
    .sgpr_spill_count: 0
    .symbol:         _Z16warp_load_kernelILj256ELj16ELj32ELN6hipcub17WarpLoadAlgorithmE2EiEvPT3_S3_.kd
    .uniform_work_group_size: 1
    .uses_dynamic_stack: false
    .vgpr_count:     43
    .vgpr_spill_count: 0
    .wavefront_size: 32
    .workgroup_processor_mode: 1
  - .args:
      - .address_space:  global
        .offset:         0
        .size:           8
        .value_kind:     global_buffer
      - .address_space:  global
        .offset:         8
        .size:           8
        .value_kind:     global_buffer
    .group_segment_fixed_size: 16384
    .kernarg_segment_align: 8
    .kernarg_segment_size: 16
    .language:       OpenCL C
    .language_version:
      - 2
      - 0
    .max_flat_workgroup_size: 256
    .name:           _Z16warp_load_kernelILj256ELj16ELj32ELN6hipcub17WarpLoadAlgorithmE3EiEvPT3_S3_
    .private_segment_fixed_size: 0
    .sgpr_count:     18
    .sgpr_spill_count: 0
    .symbol:         _Z16warp_load_kernelILj256ELj16ELj32ELN6hipcub17WarpLoadAlgorithmE3EiEvPT3_S3_.kd
    .uniform_work_group_size: 1
    .uses_dynamic_stack: false
    .vgpr_count:     61
    .vgpr_spill_count: 0
    .wavefront_size: 32
    .workgroup_processor_mode: 1
  - .args:
      - .address_space:  global
        .offset:         0
        .size:           8
        .value_kind:     global_buffer
      - .address_space:  global
        .offset:         8
        .size:           8
        .value_kind:     global_buffer
    .group_segment_fixed_size: 0
    .kernarg_segment_align: 8
    .kernarg_segment_size: 16
    .language:       OpenCL C
    .language_version:
      - 2
      - 0
    .max_flat_workgroup_size: 256
    .name:           _Z16warp_load_kernelILj256ELj32ELj32ELN6hipcub17WarpLoadAlgorithmE0EiEvPT3_S3_
    .private_segment_fixed_size: 0
    .sgpr_count:     18
    .sgpr_spill_count: 0
    .symbol:         _Z16warp_load_kernelILj256ELj32ELj32ELN6hipcub17WarpLoadAlgorithmE0EiEvPT3_S3_.kd
    .uniform_work_group_size: 1
    .uses_dynamic_stack: false
    .vgpr_count:     91
    .vgpr_spill_count: 0
    .wavefront_size: 32
    .workgroup_processor_mode: 1
  - .args:
      - .address_space:  global
        .offset:         0
        .size:           8
        .value_kind:     global_buffer
      - .address_space:  global
        .offset:         8
        .size:           8
        .value_kind:     global_buffer
    .group_segment_fixed_size: 0
    .kernarg_segment_align: 8
    .kernarg_segment_size: 16
    .language:       OpenCL C
    .language_version:
      - 2
      - 0
    .max_flat_workgroup_size: 256
    .name:           _Z16warp_load_kernelILj256ELj32ELj32ELN6hipcub17WarpLoadAlgorithmE1EiEvPT3_S3_
    .private_segment_fixed_size: 0
    .sgpr_count:     18
    .sgpr_spill_count: 0
    .symbol:         _Z16warp_load_kernelILj256ELj32ELj32ELN6hipcub17WarpLoadAlgorithmE1EiEvPT3_S3_.kd
    .uniform_work_group_size: 1
    .uses_dynamic_stack: false
    .vgpr_count:     91
    .vgpr_spill_count: 0
    .wavefront_size: 32
    .workgroup_processor_mode: 1
  - .args:
      - .address_space:  global
        .offset:         0
        .size:           8
        .value_kind:     global_buffer
      - .address_space:  global
        .offset:         8
        .size:           8
        .value_kind:     global_buffer
    .group_segment_fixed_size: 0
    .kernarg_segment_align: 8
    .kernarg_segment_size: 16
    .language:       OpenCL C
    .language_version:
      - 2
      - 0
    .max_flat_workgroup_size: 256
    .name:           _Z16warp_load_kernelILj256ELj32ELj32ELN6hipcub17WarpLoadAlgorithmE2EiEvPT3_S3_
    .private_segment_fixed_size: 0
    .sgpr_count:     18
    .sgpr_spill_count: 0
    .symbol:         _Z16warp_load_kernelILj256ELj32ELj32ELN6hipcub17WarpLoadAlgorithmE2EiEvPT3_S3_.kd
    .uniform_work_group_size: 1
    .uses_dynamic_stack: false
    .vgpr_count:     91
    .vgpr_spill_count: 0
    .wavefront_size: 32
    .workgroup_processor_mode: 1
  - .args:
      - .address_space:  global
        .offset:         0
        .size:           8
        .value_kind:     global_buffer
      - .address_space:  global
        .offset:         8
        .size:           8
        .value_kind:     global_buffer
    .group_segment_fixed_size: 32768
    .kernarg_segment_align: 8
    .kernarg_segment_size: 16
    .language:       OpenCL C
    .language_version:
      - 2
      - 0
    .max_flat_workgroup_size: 256
    .name:           _Z16warp_load_kernelILj256ELj32ELj32ELN6hipcub17WarpLoadAlgorithmE3EiEvPT3_S3_
    .private_segment_fixed_size: 0
    .sgpr_count:     18
    .sgpr_spill_count: 0
    .symbol:         _Z16warp_load_kernelILj256ELj32ELj32ELN6hipcub17WarpLoadAlgorithmE3EiEvPT3_S3_.kd
    .uniform_work_group_size: 1
    .uses_dynamic_stack: false
    .vgpr_count:     127
    .vgpr_spill_count: 0
    .wavefront_size: 32
    .workgroup_processor_mode: 1
  - .args:
      - .address_space:  global
        .offset:         0
        .size:           8
        .value_kind:     global_buffer
      - .address_space:  global
        .offset:         8
        .size:           8
        .value_kind:     global_buffer
    .group_segment_fixed_size: 0
    .kernarg_segment_align: 8
    .kernarg_segment_size: 16
    .language:       OpenCL C
    .language_version:
      - 2
      - 0
    .max_flat_workgroup_size: 256
    .name:           _Z16warp_load_kernelILj256ELj64ELj32ELN6hipcub17WarpLoadAlgorithmE0EiEvPT3_S3_
    .private_segment_fixed_size: 0
    .sgpr_count:     18
    .sgpr_spill_count: 0
    .symbol:         _Z16warp_load_kernelILj256ELj64ELj32ELN6hipcub17WarpLoadAlgorithmE0EiEvPT3_S3_.kd
    .uniform_work_group_size: 1
    .uses_dynamic_stack: false
    .vgpr_count:     95
    .vgpr_spill_count: 0
    .wavefront_size: 32
    .workgroup_processor_mode: 1
  - .args:
      - .address_space:  global
        .offset:         0
        .size:           8
        .value_kind:     global_buffer
      - .address_space:  global
        .offset:         8
        .size:           8
        .value_kind:     global_buffer
    .group_segment_fixed_size: 0
    .kernarg_segment_align: 8
    .kernarg_segment_size: 16
    .language:       OpenCL C
    .language_version:
      - 2
      - 0
    .max_flat_workgroup_size: 256
    .name:           _Z16warp_load_kernelILj256ELj64ELj32ELN6hipcub17WarpLoadAlgorithmE1EiEvPT3_S3_
    .private_segment_fixed_size: 0
    .sgpr_count:     18
    .sgpr_spill_count: 0
    .symbol:         _Z16warp_load_kernelILj256ELj64ELj32ELN6hipcub17WarpLoadAlgorithmE1EiEvPT3_S3_.kd
    .uniform_work_group_size: 1
    .uses_dynamic_stack: false
    .vgpr_count:     94
    .vgpr_spill_count: 0
    .wavefront_size: 32
    .workgroup_processor_mode: 1
  - .args:
      - .address_space:  global
        .offset:         0
        .size:           8
        .value_kind:     global_buffer
      - .address_space:  global
        .offset:         8
        .size:           8
        .value_kind:     global_buffer
    .group_segment_fixed_size: 0
    .kernarg_segment_align: 8
    .kernarg_segment_size: 16
    .language:       OpenCL C
    .language_version:
      - 2
      - 0
    .max_flat_workgroup_size: 256
    .name:           _Z16warp_load_kernelILj256ELj64ELj32ELN6hipcub17WarpLoadAlgorithmE2EiEvPT3_S3_
    .private_segment_fixed_size: 0
    .sgpr_count:     18
    .sgpr_spill_count: 0
    .symbol:         _Z16warp_load_kernelILj256ELj64ELj32ELN6hipcub17WarpLoadAlgorithmE2EiEvPT3_S3_.kd
    .uniform_work_group_size: 1
    .uses_dynamic_stack: false
    .vgpr_count:     95
    .vgpr_spill_count: 0
    .wavefront_size: 32
    .workgroup_processor_mode: 1
  - .args:
      - .address_space:  global
        .offset:         0
        .size:           8
        .value_kind:     global_buffer
      - .address_space:  global
        .offset:         8
        .size:           8
        .value_kind:     global_buffer
    .group_segment_fixed_size: 0
    .kernarg_segment_align: 8
    .kernarg_segment_size: 16
    .language:       OpenCL C
    .language_version:
      - 2
      - 0
    .max_flat_workgroup_size: 256
    .name:           _Z16warp_load_kernelILj256ELj4ELj32ELN6hipcub17WarpLoadAlgorithmE0EdEvPT3_S3_
    .private_segment_fixed_size: 0
    .sgpr_count:     18
    .sgpr_spill_count: 0
    .symbol:         _Z16warp_load_kernelILj256ELj4ELj32ELN6hipcub17WarpLoadAlgorithmE0EdEvPT3_S3_.kd
    .uniform_work_group_size: 1
    .uses_dynamic_stack: false
    .vgpr_count:     17
    .vgpr_spill_count: 0
    .wavefront_size: 32
    .workgroup_processor_mode: 1
  - .args:
      - .address_space:  global
        .offset:         0
        .size:           8
        .value_kind:     global_buffer
      - .address_space:  global
        .offset:         8
        .size:           8
        .value_kind:     global_buffer
    .group_segment_fixed_size: 0
    .kernarg_segment_align: 8
    .kernarg_segment_size: 16
    .language:       OpenCL C
    .language_version:
      - 2
      - 0
    .max_flat_workgroup_size: 256
    .name:           _Z16warp_load_kernelILj256ELj4ELj32ELN6hipcub17WarpLoadAlgorithmE1EdEvPT3_S3_
    .private_segment_fixed_size: 0
    .sgpr_count:     18
    .sgpr_spill_count: 0
    .symbol:         _Z16warp_load_kernelILj256ELj4ELj32ELN6hipcub17WarpLoadAlgorithmE1EdEvPT3_S3_.kd
    .uniform_work_group_size: 1
    .uses_dynamic_stack: false
    .vgpr_count:     17
    .vgpr_spill_count: 0
    .wavefront_size: 32
    .workgroup_processor_mode: 1
  - .args:
      - .address_space:  global
        .offset:         0
        .size:           8
        .value_kind:     global_buffer
      - .address_space:  global
        .offset:         8
        .size:           8
        .value_kind:     global_buffer
    .group_segment_fixed_size: 0
    .kernarg_segment_align: 8
    .kernarg_segment_size: 16
    .language:       OpenCL C
    .language_version:
      - 2
      - 0
    .max_flat_workgroup_size: 256
    .name:           _Z16warp_load_kernelILj256ELj4ELj32ELN6hipcub17WarpLoadAlgorithmE2EdEvPT3_S3_
    .private_segment_fixed_size: 0
    .sgpr_count:     18
    .sgpr_spill_count: 0
    .symbol:         _Z16warp_load_kernelILj256ELj4ELj32ELN6hipcub17WarpLoadAlgorithmE2EdEvPT3_S3_.kd
    .uniform_work_group_size: 1
    .uses_dynamic_stack: false
    .vgpr_count:     17
    .vgpr_spill_count: 0
    .wavefront_size: 32
    .workgroup_processor_mode: 1
  - .args:
      - .address_space:  global
        .offset:         0
        .size:           8
        .value_kind:     global_buffer
      - .address_space:  global
        .offset:         8
        .size:           8
        .value_kind:     global_buffer
    .group_segment_fixed_size: 8192
    .kernarg_segment_align: 8
    .kernarg_segment_size: 16
    .language:       OpenCL C
    .language_version:
      - 2
      - 0
    .max_flat_workgroup_size: 256
    .name:           _Z16warp_load_kernelILj256ELj4ELj32ELN6hipcub17WarpLoadAlgorithmE3EdEvPT3_S3_
    .private_segment_fixed_size: 0
    .sgpr_count:     18
    .sgpr_spill_count: 0
    .symbol:         _Z16warp_load_kernelILj256ELj4ELj32ELN6hipcub17WarpLoadAlgorithmE3EdEvPT3_S3_.kd
    .uniform_work_group_size: 1
    .uses_dynamic_stack: false
    .vgpr_count:     19
    .vgpr_spill_count: 0
    .wavefront_size: 32
    .workgroup_processor_mode: 1
  - .args:
      - .address_space:  global
        .offset:         0
        .size:           8
        .value_kind:     global_buffer
      - .address_space:  global
        .offset:         8
        .size:           8
        .value_kind:     global_buffer
    .group_segment_fixed_size: 0
    .kernarg_segment_align: 8
    .kernarg_segment_size: 16
    .language:       OpenCL C
    .language_version:
      - 2
      - 0
    .max_flat_workgroup_size: 256
    .name:           _Z16warp_load_kernelILj256ELj8ELj32ELN6hipcub17WarpLoadAlgorithmE0EdEvPT3_S3_
    .private_segment_fixed_size: 0
    .sgpr_count:     18
    .sgpr_spill_count: 0
    .symbol:         _Z16warp_load_kernelILj256ELj8ELj32ELN6hipcub17WarpLoadAlgorithmE0EdEvPT3_S3_.kd
    .uniform_work_group_size: 1
    .uses_dynamic_stack: false
    .vgpr_count:     31
    .vgpr_spill_count: 0
    .wavefront_size: 32
    .workgroup_processor_mode: 1
  - .args:
      - .address_space:  global
        .offset:         0
        .size:           8
        .value_kind:     global_buffer
      - .address_space:  global
        .offset:         8
        .size:           8
        .value_kind:     global_buffer
    .group_segment_fixed_size: 0
    .kernarg_segment_align: 8
    .kernarg_segment_size: 16
    .language:       OpenCL C
    .language_version:
      - 2
      - 0
    .max_flat_workgroup_size: 256
    .name:           _Z16warp_load_kernelILj256ELj8ELj32ELN6hipcub17WarpLoadAlgorithmE1EdEvPT3_S3_
    .private_segment_fixed_size: 0
    .sgpr_count:     18
    .sgpr_spill_count: 0
    .symbol:         _Z16warp_load_kernelILj256ELj8ELj32ELN6hipcub17WarpLoadAlgorithmE1EdEvPT3_S3_.kd
    .uniform_work_group_size: 1
    .uses_dynamic_stack: false
    .vgpr_count:     31
    .vgpr_spill_count: 0
    .wavefront_size: 32
    .workgroup_processor_mode: 1
  - .args:
      - .address_space:  global
        .offset:         0
        .size:           8
        .value_kind:     global_buffer
      - .address_space:  global
        .offset:         8
        .size:           8
        .value_kind:     global_buffer
    .group_segment_fixed_size: 0
    .kernarg_segment_align: 8
    .kernarg_segment_size: 16
    .language:       OpenCL C
    .language_version:
      - 2
      - 0
    .max_flat_workgroup_size: 256
    .name:           _Z16warp_load_kernelILj256ELj8ELj32ELN6hipcub17WarpLoadAlgorithmE2EdEvPT3_S3_
    .private_segment_fixed_size: 0
    .sgpr_count:     18
    .sgpr_spill_count: 0
    .symbol:         _Z16warp_load_kernelILj256ELj8ELj32ELN6hipcub17WarpLoadAlgorithmE2EdEvPT3_S3_.kd
    .uniform_work_group_size: 1
    .uses_dynamic_stack: false
    .vgpr_count:     31
    .vgpr_spill_count: 0
    .wavefront_size: 32
    .workgroup_processor_mode: 1
  - .args:
      - .address_space:  global
        .offset:         0
        .size:           8
        .value_kind:     global_buffer
      - .address_space:  global
        .offset:         8
        .size:           8
        .value_kind:     global_buffer
    .group_segment_fixed_size: 16384
    .kernarg_segment_align: 8
    .kernarg_segment_size: 16
    .language:       OpenCL C
    .language_version:
      - 2
      - 0
    .max_flat_workgroup_size: 256
    .name:           _Z16warp_load_kernelILj256ELj8ELj32ELN6hipcub17WarpLoadAlgorithmE3EdEvPT3_S3_
    .private_segment_fixed_size: 0
    .sgpr_count:     18
    .sgpr_spill_count: 0
    .symbol:         _Z16warp_load_kernelILj256ELj8ELj32ELN6hipcub17WarpLoadAlgorithmE3EdEvPT3_S3_.kd
    .uniform_work_group_size: 1
    .uses_dynamic_stack: false
    .vgpr_count:     34
    .vgpr_spill_count: 0
    .wavefront_size: 32
    .workgroup_processor_mode: 1
  - .args:
      - .address_space:  global
        .offset:         0
        .size:           8
        .value_kind:     global_buffer
      - .address_space:  global
        .offset:         8
        .size:           8
        .value_kind:     global_buffer
    .group_segment_fixed_size: 0
    .kernarg_segment_align: 8
    .kernarg_segment_size: 16
    .language:       OpenCL C
    .language_version:
      - 2
      - 0
    .max_flat_workgroup_size: 256
    .name:           _Z16warp_load_kernelILj256ELj16ELj32ELN6hipcub17WarpLoadAlgorithmE0EdEvPT3_S3_
    .private_segment_fixed_size: 0
    .sgpr_count:     18
    .sgpr_spill_count: 0
    .symbol:         _Z16warp_load_kernelILj256ELj16ELj32ELN6hipcub17WarpLoadAlgorithmE0EdEvPT3_S3_.kd
    .uniform_work_group_size: 1
    .uses_dynamic_stack: false
    .vgpr_count:     63
    .vgpr_spill_count: 0
    .wavefront_size: 32
    .workgroup_processor_mode: 1
  - .args:
      - .address_space:  global
        .offset:         0
        .size:           8
        .value_kind:     global_buffer
      - .address_space:  global
        .offset:         8
        .size:           8
        .value_kind:     global_buffer
    .group_segment_fixed_size: 0
    .kernarg_segment_align: 8
    .kernarg_segment_size: 16
    .language:       OpenCL C
    .language_version:
      - 2
      - 0
    .max_flat_workgroup_size: 256
    .name:           _Z16warp_load_kernelILj256ELj16ELj32ELN6hipcub17WarpLoadAlgorithmE1EdEvPT3_S3_
    .private_segment_fixed_size: 0
    .sgpr_count:     18
    .sgpr_spill_count: 0
    .symbol:         _Z16warp_load_kernelILj256ELj16ELj32ELN6hipcub17WarpLoadAlgorithmE1EdEvPT3_S3_.kd
    .uniform_work_group_size: 1
    .uses_dynamic_stack: false
    .vgpr_count:     63
    .vgpr_spill_count: 0
    .wavefront_size: 32
    .workgroup_processor_mode: 1
  - .args:
      - .address_space:  global
        .offset:         0
        .size:           8
        .value_kind:     global_buffer
      - .address_space:  global
        .offset:         8
        .size:           8
        .value_kind:     global_buffer
    .group_segment_fixed_size: 0
    .kernarg_segment_align: 8
    .kernarg_segment_size: 16
    .language:       OpenCL C
    .language_version:
      - 2
      - 0
    .max_flat_workgroup_size: 256
    .name:           _Z16warp_load_kernelILj256ELj16ELj32ELN6hipcub17WarpLoadAlgorithmE2EdEvPT3_S3_
    .private_segment_fixed_size: 0
    .sgpr_count:     18
    .sgpr_spill_count: 0
    .symbol:         _Z16warp_load_kernelILj256ELj16ELj32ELN6hipcub17WarpLoadAlgorithmE2EdEvPT3_S3_.kd
    .uniform_work_group_size: 1
    .uses_dynamic_stack: false
    .vgpr_count:     63
    .vgpr_spill_count: 0
    .wavefront_size: 32
    .workgroup_processor_mode: 1
  - .args:
      - .address_space:  global
        .offset:         0
        .size:           8
        .value_kind:     global_buffer
      - .address_space:  global
        .offset:         8
        .size:           8
        .value_kind:     global_buffer
    .group_segment_fixed_size: 32768
    .kernarg_segment_align: 8
    .kernarg_segment_size: 16
    .language:       OpenCL C
    .language_version:
      - 2
      - 0
    .max_flat_workgroup_size: 256
    .name:           _Z16warp_load_kernelILj256ELj16ELj32ELN6hipcub17WarpLoadAlgorithmE3EdEvPT3_S3_
    .private_segment_fixed_size: 0
    .sgpr_count:     18
    .sgpr_spill_count: 0
    .symbol:         _Z16warp_load_kernelILj256ELj16ELj32ELN6hipcub17WarpLoadAlgorithmE3EdEvPT3_S3_.kd
    .uniform_work_group_size: 1
    .uses_dynamic_stack: false
    .vgpr_count:     67
    .vgpr_spill_count: 0
    .wavefront_size: 32
    .workgroup_processor_mode: 1
  - .args:
      - .address_space:  global
        .offset:         0
        .size:           8
        .value_kind:     global_buffer
      - .address_space:  global
        .offset:         8
        .size:           8
        .value_kind:     global_buffer
    .group_segment_fixed_size: 0
    .kernarg_segment_align: 8
    .kernarg_segment_size: 16
    .language:       OpenCL C
    .language_version:
      - 2
      - 0
    .max_flat_workgroup_size: 256
    .name:           _Z16warp_load_kernelILj256ELj32ELj32ELN6hipcub17WarpLoadAlgorithmE0EdEvPT3_S3_
    .private_segment_fixed_size: 0
    .sgpr_count:     18
    .sgpr_spill_count: 0
    .symbol:         _Z16warp_load_kernelILj256ELj32ELj32ELN6hipcub17WarpLoadAlgorithmE0EdEvPT3_S3_.kd
    .uniform_work_group_size: 1
    .uses_dynamic_stack: false
    .vgpr_count:     92
    .vgpr_spill_count: 0
    .wavefront_size: 32
    .workgroup_processor_mode: 1
  - .args:
      - .address_space:  global
        .offset:         0
        .size:           8
        .value_kind:     global_buffer
      - .address_space:  global
        .offset:         8
        .size:           8
        .value_kind:     global_buffer
    .group_segment_fixed_size: 0
    .kernarg_segment_align: 8
    .kernarg_segment_size: 16
    .language:       OpenCL C
    .language_version:
      - 2
      - 0
    .max_flat_workgroup_size: 256
    .name:           _Z16warp_load_kernelILj256ELj32ELj32ELN6hipcub17WarpLoadAlgorithmE1EdEvPT3_S3_
    .private_segment_fixed_size: 0
    .sgpr_count:     18
    .sgpr_spill_count: 0
    .symbol:         _Z16warp_load_kernelILj256ELj32ELj32ELN6hipcub17WarpLoadAlgorithmE1EdEvPT3_S3_.kd
    .uniform_work_group_size: 1
    .uses_dynamic_stack: false
    .vgpr_count:     95
    .vgpr_spill_count: 0
    .wavefront_size: 32
    .workgroup_processor_mode: 1
  - .args:
      - .address_space:  global
        .offset:         0
        .size:           8
        .value_kind:     global_buffer
      - .address_space:  global
        .offset:         8
        .size:           8
        .value_kind:     global_buffer
    .group_segment_fixed_size: 0
    .kernarg_segment_align: 8
    .kernarg_segment_size: 16
    .language:       OpenCL C
    .language_version:
      - 2
      - 0
    .max_flat_workgroup_size: 256
    .name:           _Z16warp_load_kernelILj256ELj32ELj32ELN6hipcub17WarpLoadAlgorithmE2EdEvPT3_S3_
    .private_segment_fixed_size: 0
    .sgpr_count:     18
    .sgpr_spill_count: 0
    .symbol:         _Z16warp_load_kernelILj256ELj32ELj32ELN6hipcub17WarpLoadAlgorithmE2EdEvPT3_S3_.kd
    .uniform_work_group_size: 1
    .uses_dynamic_stack: false
    .vgpr_count:     92
    .vgpr_spill_count: 0
    .wavefront_size: 32
    .workgroup_processor_mode: 1
  - .args:
      - .address_space:  global
        .offset:         0
        .size:           8
        .value_kind:     global_buffer
      - .address_space:  global
        .offset:         8
        .size:           8
        .value_kind:     global_buffer
    .group_segment_fixed_size: 0
    .kernarg_segment_align: 8
    .kernarg_segment_size: 16
    .language:       OpenCL C
    .language_version:
      - 2
      - 0
    .max_flat_workgroup_size: 256
    .name:           _Z16warp_load_kernelILj256ELj64ELj32ELN6hipcub17WarpLoadAlgorithmE0EdEvPT3_S3_
    .private_segment_fixed_size: 0
    .sgpr_count:     18
    .sgpr_spill_count: 0
    .symbol:         _Z16warp_load_kernelILj256ELj64ELj32ELN6hipcub17WarpLoadAlgorithmE0EdEvPT3_S3_.kd
    .uniform_work_group_size: 1
    .uses_dynamic_stack: false
    .vgpr_count:     142
    .vgpr_spill_count: 0
    .wavefront_size: 32
    .workgroup_processor_mode: 1
  - .args:
      - .address_space:  global
        .offset:         0
        .size:           8
        .value_kind:     global_buffer
      - .address_space:  global
        .offset:         8
        .size:           8
        .value_kind:     global_buffer
    .group_segment_fixed_size: 0
    .kernarg_segment_align: 8
    .kernarg_segment_size: 16
    .language:       OpenCL C
    .language_version:
      - 2
      - 0
    .max_flat_workgroup_size: 256
    .name:           _Z16warp_load_kernelILj256ELj64ELj32ELN6hipcub17WarpLoadAlgorithmE1EdEvPT3_S3_
    .private_segment_fixed_size: 0
    .sgpr_count:     18
    .sgpr_spill_count: 0
    .symbol:         _Z16warp_load_kernelILj256ELj64ELj32ELN6hipcub17WarpLoadAlgorithmE1EdEvPT3_S3_.kd
    .uniform_work_group_size: 1
    .uses_dynamic_stack: false
    .vgpr_count:     145
    .vgpr_spill_count: 0
    .wavefront_size: 32
    .workgroup_processor_mode: 1
  - .args:
      - .address_space:  global
        .offset:         0
        .size:           8
        .value_kind:     global_buffer
      - .address_space:  global
        .offset:         8
        .size:           8
        .value_kind:     global_buffer
    .group_segment_fixed_size: 0
    .kernarg_segment_align: 8
    .kernarg_segment_size: 16
    .language:       OpenCL C
    .language_version:
      - 2
      - 0
    .max_flat_workgroup_size: 256
    .name:           _Z16warp_load_kernelILj256ELj64ELj32ELN6hipcub17WarpLoadAlgorithmE2EdEvPT3_S3_
    .private_segment_fixed_size: 0
    .sgpr_count:     18
    .sgpr_spill_count: 0
    .symbol:         _Z16warp_load_kernelILj256ELj64ELj32ELN6hipcub17WarpLoadAlgorithmE2EdEvPT3_S3_.kd
    .uniform_work_group_size: 1
    .uses_dynamic_stack: false
    .vgpr_count:     142
    .vgpr_spill_count: 0
    .wavefront_size: 32
    .workgroup_processor_mode: 1
  - .args:
      - .address_space:  global
        .offset:         0
        .size:           8
        .value_kind:     global_buffer
      - .address_space:  global
        .offset:         8
        .size:           8
        .value_kind:     global_buffer
    .group_segment_fixed_size: 0
    .kernarg_segment_align: 8
    .kernarg_segment_size: 16
    .language:       OpenCL C
    .language_version:
      - 2
      - 0
    .max_flat_workgroup_size: 256
    .name:           _Z16warp_load_kernelILj256ELj4ELj64ELN6hipcub17WarpLoadAlgorithmE0EiEvPT3_S3_
    .private_segment_fixed_size: 0
    .sgpr_count:     0
    .sgpr_spill_count: 0
    .symbol:         _Z16warp_load_kernelILj256ELj4ELj64ELN6hipcub17WarpLoadAlgorithmE0EiEvPT3_S3_.kd
    .uniform_work_group_size: 1
    .uses_dynamic_stack: false
    .vgpr_count:     0
    .vgpr_spill_count: 0
    .wavefront_size: 32
    .workgroup_processor_mode: 1
  - .args:
      - .address_space:  global
        .offset:         0
        .size:           8
        .value_kind:     global_buffer
      - .address_space:  global
        .offset:         8
        .size:           8
        .value_kind:     global_buffer
    .group_segment_fixed_size: 0
    .kernarg_segment_align: 8
    .kernarg_segment_size: 16
    .language:       OpenCL C
    .language_version:
      - 2
      - 0
    .max_flat_workgroup_size: 256
    .name:           _Z16warp_load_kernelILj256ELj4ELj64ELN6hipcub17WarpLoadAlgorithmE1EiEvPT3_S3_
    .private_segment_fixed_size: 0
    .sgpr_count:     0
    .sgpr_spill_count: 0
    .symbol:         _Z16warp_load_kernelILj256ELj4ELj64ELN6hipcub17WarpLoadAlgorithmE1EiEvPT3_S3_.kd
    .uniform_work_group_size: 1
    .uses_dynamic_stack: false
    .vgpr_count:     0
    .vgpr_spill_count: 0
    .wavefront_size: 32
    .workgroup_processor_mode: 1
  - .args:
      - .address_space:  global
        .offset:         0
        .size:           8
        .value_kind:     global_buffer
      - .address_space:  global
        .offset:         8
        .size:           8
        .value_kind:     global_buffer
    .group_segment_fixed_size: 0
    .kernarg_segment_align: 8
    .kernarg_segment_size: 16
    .language:       OpenCL C
    .language_version:
      - 2
      - 0
    .max_flat_workgroup_size: 256
    .name:           _Z16warp_load_kernelILj256ELj4ELj64ELN6hipcub17WarpLoadAlgorithmE2EiEvPT3_S3_
    .private_segment_fixed_size: 0
    .sgpr_count:     0
    .sgpr_spill_count: 0
    .symbol:         _Z16warp_load_kernelILj256ELj4ELj64ELN6hipcub17WarpLoadAlgorithmE2EiEvPT3_S3_.kd
    .uniform_work_group_size: 1
    .uses_dynamic_stack: false
    .vgpr_count:     0
    .vgpr_spill_count: 0
    .wavefront_size: 32
    .workgroup_processor_mode: 1
  - .args:
      - .address_space:  global
        .offset:         0
        .size:           8
        .value_kind:     global_buffer
      - .address_space:  global
        .offset:         8
        .size:           8
        .value_kind:     global_buffer
    .group_segment_fixed_size: 0
    .kernarg_segment_align: 8
    .kernarg_segment_size: 16
    .language:       OpenCL C
    .language_version:
      - 2
      - 0
    .max_flat_workgroup_size: 256
    .name:           _Z16warp_load_kernelILj256ELj4ELj64ELN6hipcub17WarpLoadAlgorithmE3EiEvPT3_S3_
    .private_segment_fixed_size: 0
    .sgpr_count:     0
    .sgpr_spill_count: 0
    .symbol:         _Z16warp_load_kernelILj256ELj4ELj64ELN6hipcub17WarpLoadAlgorithmE3EiEvPT3_S3_.kd
    .uniform_work_group_size: 1
    .uses_dynamic_stack: false
    .vgpr_count:     0
    .vgpr_spill_count: 0
    .wavefront_size: 32
    .workgroup_processor_mode: 1
  - .args:
      - .address_space:  global
        .offset:         0
        .size:           8
        .value_kind:     global_buffer
      - .address_space:  global
        .offset:         8
        .size:           8
        .value_kind:     global_buffer
    .group_segment_fixed_size: 0
    .kernarg_segment_align: 8
    .kernarg_segment_size: 16
    .language:       OpenCL C
    .language_version:
      - 2
      - 0
    .max_flat_workgroup_size: 256
    .name:           _Z16warp_load_kernelILj256ELj8ELj64ELN6hipcub17WarpLoadAlgorithmE0EiEvPT3_S3_
    .private_segment_fixed_size: 0
    .sgpr_count:     0
    .sgpr_spill_count: 0
    .symbol:         _Z16warp_load_kernelILj256ELj8ELj64ELN6hipcub17WarpLoadAlgorithmE0EiEvPT3_S3_.kd
    .uniform_work_group_size: 1
    .uses_dynamic_stack: false
    .vgpr_count:     0
    .vgpr_spill_count: 0
    .wavefront_size: 32
    .workgroup_processor_mode: 1
  - .args:
      - .address_space:  global
        .offset:         0
        .size:           8
        .value_kind:     global_buffer
      - .address_space:  global
        .offset:         8
        .size:           8
        .value_kind:     global_buffer
    .group_segment_fixed_size: 0
    .kernarg_segment_align: 8
    .kernarg_segment_size: 16
    .language:       OpenCL C
    .language_version:
      - 2
      - 0
    .max_flat_workgroup_size: 256
    .name:           _Z16warp_load_kernelILj256ELj8ELj64ELN6hipcub17WarpLoadAlgorithmE1EiEvPT3_S3_
    .private_segment_fixed_size: 0
    .sgpr_count:     0
    .sgpr_spill_count: 0
    .symbol:         _Z16warp_load_kernelILj256ELj8ELj64ELN6hipcub17WarpLoadAlgorithmE1EiEvPT3_S3_.kd
    .uniform_work_group_size: 1
    .uses_dynamic_stack: false
    .vgpr_count:     0
    .vgpr_spill_count: 0
    .wavefront_size: 32
    .workgroup_processor_mode: 1
  - .args:
      - .address_space:  global
        .offset:         0
        .size:           8
        .value_kind:     global_buffer
      - .address_space:  global
        .offset:         8
        .size:           8
        .value_kind:     global_buffer
    .group_segment_fixed_size: 0
    .kernarg_segment_align: 8
    .kernarg_segment_size: 16
    .language:       OpenCL C
    .language_version:
      - 2
      - 0
    .max_flat_workgroup_size: 256
    .name:           _Z16warp_load_kernelILj256ELj8ELj64ELN6hipcub17WarpLoadAlgorithmE2EiEvPT3_S3_
    .private_segment_fixed_size: 0
    .sgpr_count:     0
    .sgpr_spill_count: 0
    .symbol:         _Z16warp_load_kernelILj256ELj8ELj64ELN6hipcub17WarpLoadAlgorithmE2EiEvPT3_S3_.kd
    .uniform_work_group_size: 1
    .uses_dynamic_stack: false
    .vgpr_count:     0
    .vgpr_spill_count: 0
    .wavefront_size: 32
    .workgroup_processor_mode: 1
  - .args:
      - .address_space:  global
        .offset:         0
        .size:           8
        .value_kind:     global_buffer
      - .address_space:  global
        .offset:         8
        .size:           8
        .value_kind:     global_buffer
    .group_segment_fixed_size: 0
    .kernarg_segment_align: 8
    .kernarg_segment_size: 16
    .language:       OpenCL C
    .language_version:
      - 2
      - 0
    .max_flat_workgroup_size: 256
    .name:           _Z16warp_load_kernelILj256ELj8ELj64ELN6hipcub17WarpLoadAlgorithmE3EiEvPT3_S3_
    .private_segment_fixed_size: 0
    .sgpr_count:     0
    .sgpr_spill_count: 0
    .symbol:         _Z16warp_load_kernelILj256ELj8ELj64ELN6hipcub17WarpLoadAlgorithmE3EiEvPT3_S3_.kd
    .uniform_work_group_size: 1
    .uses_dynamic_stack: false
    .vgpr_count:     0
    .vgpr_spill_count: 0
    .wavefront_size: 32
    .workgroup_processor_mode: 1
  - .args:
      - .address_space:  global
        .offset:         0
        .size:           8
        .value_kind:     global_buffer
      - .address_space:  global
        .offset:         8
        .size:           8
        .value_kind:     global_buffer
    .group_segment_fixed_size: 0
    .kernarg_segment_align: 8
    .kernarg_segment_size: 16
    .language:       OpenCL C
    .language_version:
      - 2
      - 0
    .max_flat_workgroup_size: 256
    .name:           _Z16warp_load_kernelILj256ELj16ELj64ELN6hipcub17WarpLoadAlgorithmE0EiEvPT3_S3_
    .private_segment_fixed_size: 0
    .sgpr_count:     0
    .sgpr_spill_count: 0
    .symbol:         _Z16warp_load_kernelILj256ELj16ELj64ELN6hipcub17WarpLoadAlgorithmE0EiEvPT3_S3_.kd
    .uniform_work_group_size: 1
    .uses_dynamic_stack: false
    .vgpr_count:     0
    .vgpr_spill_count: 0
    .wavefront_size: 32
    .workgroup_processor_mode: 1
  - .args:
      - .address_space:  global
        .offset:         0
        .size:           8
        .value_kind:     global_buffer
      - .address_space:  global
        .offset:         8
        .size:           8
        .value_kind:     global_buffer
    .group_segment_fixed_size: 0
    .kernarg_segment_align: 8
    .kernarg_segment_size: 16
    .language:       OpenCL C
    .language_version:
      - 2
      - 0
    .max_flat_workgroup_size: 256
    .name:           _Z16warp_load_kernelILj256ELj16ELj64ELN6hipcub17WarpLoadAlgorithmE1EiEvPT3_S3_
    .private_segment_fixed_size: 0
    .sgpr_count:     0
    .sgpr_spill_count: 0
    .symbol:         _Z16warp_load_kernelILj256ELj16ELj64ELN6hipcub17WarpLoadAlgorithmE1EiEvPT3_S3_.kd
    .uniform_work_group_size: 1
    .uses_dynamic_stack: false
    .vgpr_count:     0
    .vgpr_spill_count: 0
    .wavefront_size: 32
    .workgroup_processor_mode: 1
  - .args:
      - .address_space:  global
        .offset:         0
        .size:           8
        .value_kind:     global_buffer
      - .address_space:  global
        .offset:         8
        .size:           8
        .value_kind:     global_buffer
    .group_segment_fixed_size: 0
    .kernarg_segment_align: 8
    .kernarg_segment_size: 16
    .language:       OpenCL C
    .language_version:
      - 2
      - 0
    .max_flat_workgroup_size: 256
    .name:           _Z16warp_load_kernelILj256ELj16ELj64ELN6hipcub17WarpLoadAlgorithmE2EiEvPT3_S3_
    .private_segment_fixed_size: 0
    .sgpr_count:     0
    .sgpr_spill_count: 0
    .symbol:         _Z16warp_load_kernelILj256ELj16ELj64ELN6hipcub17WarpLoadAlgorithmE2EiEvPT3_S3_.kd
    .uniform_work_group_size: 1
    .uses_dynamic_stack: false
    .vgpr_count:     0
    .vgpr_spill_count: 0
    .wavefront_size: 32
    .workgroup_processor_mode: 1
  - .args:
      - .address_space:  global
        .offset:         0
        .size:           8
        .value_kind:     global_buffer
      - .address_space:  global
        .offset:         8
        .size:           8
        .value_kind:     global_buffer
    .group_segment_fixed_size: 0
    .kernarg_segment_align: 8
    .kernarg_segment_size: 16
    .language:       OpenCL C
    .language_version:
      - 2
      - 0
    .max_flat_workgroup_size: 256
    .name:           _Z16warp_load_kernelILj256ELj16ELj64ELN6hipcub17WarpLoadAlgorithmE3EiEvPT3_S3_
    .private_segment_fixed_size: 0
    .sgpr_count:     0
    .sgpr_spill_count: 0
    .symbol:         _Z16warp_load_kernelILj256ELj16ELj64ELN6hipcub17WarpLoadAlgorithmE3EiEvPT3_S3_.kd
    .uniform_work_group_size: 1
    .uses_dynamic_stack: false
    .vgpr_count:     0
    .vgpr_spill_count: 0
    .wavefront_size: 32
    .workgroup_processor_mode: 1
  - .args:
      - .address_space:  global
        .offset:         0
        .size:           8
        .value_kind:     global_buffer
      - .address_space:  global
        .offset:         8
        .size:           8
        .value_kind:     global_buffer
    .group_segment_fixed_size: 0
    .kernarg_segment_align: 8
    .kernarg_segment_size: 16
    .language:       OpenCL C
    .language_version:
      - 2
      - 0
    .max_flat_workgroup_size: 256
    .name:           _Z16warp_load_kernelILj256ELj32ELj64ELN6hipcub17WarpLoadAlgorithmE0EiEvPT3_S3_
    .private_segment_fixed_size: 0
    .sgpr_count:     0
    .sgpr_spill_count: 0
    .symbol:         _Z16warp_load_kernelILj256ELj32ELj64ELN6hipcub17WarpLoadAlgorithmE0EiEvPT3_S3_.kd
    .uniform_work_group_size: 1
    .uses_dynamic_stack: false
    .vgpr_count:     0
    .vgpr_spill_count: 0
    .wavefront_size: 32
    .workgroup_processor_mode: 1
  - .args:
      - .address_space:  global
        .offset:         0
        .size:           8
        .value_kind:     global_buffer
      - .address_space:  global
        .offset:         8
        .size:           8
        .value_kind:     global_buffer
    .group_segment_fixed_size: 0
    .kernarg_segment_align: 8
    .kernarg_segment_size: 16
    .language:       OpenCL C
    .language_version:
      - 2
      - 0
    .max_flat_workgroup_size: 256
    .name:           _Z16warp_load_kernelILj256ELj32ELj64ELN6hipcub17WarpLoadAlgorithmE1EiEvPT3_S3_
    .private_segment_fixed_size: 0
    .sgpr_count:     0
    .sgpr_spill_count: 0
    .symbol:         _Z16warp_load_kernelILj256ELj32ELj64ELN6hipcub17WarpLoadAlgorithmE1EiEvPT3_S3_.kd
    .uniform_work_group_size: 1
    .uses_dynamic_stack: false
    .vgpr_count:     0
    .vgpr_spill_count: 0
    .wavefront_size: 32
    .workgroup_processor_mode: 1
  - .args:
      - .address_space:  global
        .offset:         0
        .size:           8
        .value_kind:     global_buffer
      - .address_space:  global
        .offset:         8
        .size:           8
        .value_kind:     global_buffer
    .group_segment_fixed_size: 0
    .kernarg_segment_align: 8
    .kernarg_segment_size: 16
    .language:       OpenCL C
    .language_version:
      - 2
      - 0
    .max_flat_workgroup_size: 256
    .name:           _Z16warp_load_kernelILj256ELj32ELj64ELN6hipcub17WarpLoadAlgorithmE2EiEvPT3_S3_
    .private_segment_fixed_size: 0
    .sgpr_count:     0
    .sgpr_spill_count: 0
    .symbol:         _Z16warp_load_kernelILj256ELj32ELj64ELN6hipcub17WarpLoadAlgorithmE2EiEvPT3_S3_.kd
    .uniform_work_group_size: 1
    .uses_dynamic_stack: false
    .vgpr_count:     0
    .vgpr_spill_count: 0
    .wavefront_size: 32
    .workgroup_processor_mode: 1
  - .args:
      - .address_space:  global
        .offset:         0
        .size:           8
        .value_kind:     global_buffer
      - .address_space:  global
        .offset:         8
        .size:           8
        .value_kind:     global_buffer
    .group_segment_fixed_size: 0
    .kernarg_segment_align: 8
    .kernarg_segment_size: 16
    .language:       OpenCL C
    .language_version:
      - 2
      - 0
    .max_flat_workgroup_size: 256
    .name:           _Z16warp_load_kernelILj256ELj32ELj64ELN6hipcub17WarpLoadAlgorithmE3EiEvPT3_S3_
    .private_segment_fixed_size: 0
    .sgpr_count:     0
    .sgpr_spill_count: 0
    .symbol:         _Z16warp_load_kernelILj256ELj32ELj64ELN6hipcub17WarpLoadAlgorithmE3EiEvPT3_S3_.kd
    .uniform_work_group_size: 1
    .uses_dynamic_stack: false
    .vgpr_count:     0
    .vgpr_spill_count: 0
    .wavefront_size: 32
    .workgroup_processor_mode: 1
  - .args:
      - .address_space:  global
        .offset:         0
        .size:           8
        .value_kind:     global_buffer
      - .address_space:  global
        .offset:         8
        .size:           8
        .value_kind:     global_buffer
    .group_segment_fixed_size: 0
    .kernarg_segment_align: 8
    .kernarg_segment_size: 16
    .language:       OpenCL C
    .language_version:
      - 2
      - 0
    .max_flat_workgroup_size: 256
    .name:           _Z16warp_load_kernelILj256ELj64ELj64ELN6hipcub17WarpLoadAlgorithmE0EiEvPT3_S3_
    .private_segment_fixed_size: 0
    .sgpr_count:     0
    .sgpr_spill_count: 0
    .symbol:         _Z16warp_load_kernelILj256ELj64ELj64ELN6hipcub17WarpLoadAlgorithmE0EiEvPT3_S3_.kd
    .uniform_work_group_size: 1
    .uses_dynamic_stack: false
    .vgpr_count:     0
    .vgpr_spill_count: 0
    .wavefront_size: 32
    .workgroup_processor_mode: 1
  - .args:
      - .address_space:  global
        .offset:         0
        .size:           8
        .value_kind:     global_buffer
      - .address_space:  global
        .offset:         8
        .size:           8
        .value_kind:     global_buffer
    .group_segment_fixed_size: 0
    .kernarg_segment_align: 8
    .kernarg_segment_size: 16
    .language:       OpenCL C
    .language_version:
      - 2
      - 0
    .max_flat_workgroup_size: 256
    .name:           _Z16warp_load_kernelILj256ELj64ELj64ELN6hipcub17WarpLoadAlgorithmE1EiEvPT3_S3_
    .private_segment_fixed_size: 0
    .sgpr_count:     0
    .sgpr_spill_count: 0
    .symbol:         _Z16warp_load_kernelILj256ELj64ELj64ELN6hipcub17WarpLoadAlgorithmE1EiEvPT3_S3_.kd
    .uniform_work_group_size: 1
    .uses_dynamic_stack: false
    .vgpr_count:     0
    .vgpr_spill_count: 0
    .wavefront_size: 32
    .workgroup_processor_mode: 1
  - .args:
      - .address_space:  global
        .offset:         0
        .size:           8
        .value_kind:     global_buffer
      - .address_space:  global
        .offset:         8
        .size:           8
        .value_kind:     global_buffer
    .group_segment_fixed_size: 0
    .kernarg_segment_align: 8
    .kernarg_segment_size: 16
    .language:       OpenCL C
    .language_version:
      - 2
      - 0
    .max_flat_workgroup_size: 256
    .name:           _Z16warp_load_kernelILj256ELj64ELj64ELN6hipcub17WarpLoadAlgorithmE2EiEvPT3_S3_
    .private_segment_fixed_size: 0
    .sgpr_count:     0
    .sgpr_spill_count: 0
    .symbol:         _Z16warp_load_kernelILj256ELj64ELj64ELN6hipcub17WarpLoadAlgorithmE2EiEvPT3_S3_.kd
    .uniform_work_group_size: 1
    .uses_dynamic_stack: false
    .vgpr_count:     0
    .vgpr_spill_count: 0
    .wavefront_size: 32
    .workgroup_processor_mode: 1
  - .args:
      - .address_space:  global
        .offset:         0
        .size:           8
        .value_kind:     global_buffer
      - .address_space:  global
        .offset:         8
        .size:           8
        .value_kind:     global_buffer
    .group_segment_fixed_size: 0
    .kernarg_segment_align: 8
    .kernarg_segment_size: 16
    .language:       OpenCL C
    .language_version:
      - 2
      - 0
    .max_flat_workgroup_size: 256
    .name:           _Z16warp_load_kernelILj256ELj4ELj64ELN6hipcub17WarpLoadAlgorithmE0EdEvPT3_S3_
    .private_segment_fixed_size: 0
    .sgpr_count:     0
    .sgpr_spill_count: 0
    .symbol:         _Z16warp_load_kernelILj256ELj4ELj64ELN6hipcub17WarpLoadAlgorithmE0EdEvPT3_S3_.kd
    .uniform_work_group_size: 1
    .uses_dynamic_stack: false
    .vgpr_count:     0
    .vgpr_spill_count: 0
    .wavefront_size: 32
    .workgroup_processor_mode: 1
  - .args:
      - .address_space:  global
        .offset:         0
        .size:           8
        .value_kind:     global_buffer
      - .address_space:  global
        .offset:         8
        .size:           8
        .value_kind:     global_buffer
    .group_segment_fixed_size: 0
    .kernarg_segment_align: 8
    .kernarg_segment_size: 16
    .language:       OpenCL C
    .language_version:
      - 2
      - 0
    .max_flat_workgroup_size: 256
    .name:           _Z16warp_load_kernelILj256ELj4ELj64ELN6hipcub17WarpLoadAlgorithmE1EdEvPT3_S3_
    .private_segment_fixed_size: 0
    .sgpr_count:     0
    .sgpr_spill_count: 0
    .symbol:         _Z16warp_load_kernelILj256ELj4ELj64ELN6hipcub17WarpLoadAlgorithmE1EdEvPT3_S3_.kd
    .uniform_work_group_size: 1
    .uses_dynamic_stack: false
    .vgpr_count:     0
    .vgpr_spill_count: 0
    .wavefront_size: 32
    .workgroup_processor_mode: 1
  - .args:
      - .address_space:  global
        .offset:         0
        .size:           8
        .value_kind:     global_buffer
      - .address_space:  global
        .offset:         8
        .size:           8
        .value_kind:     global_buffer
    .group_segment_fixed_size: 0
    .kernarg_segment_align: 8
    .kernarg_segment_size: 16
    .language:       OpenCL C
    .language_version:
      - 2
      - 0
    .max_flat_workgroup_size: 256
    .name:           _Z16warp_load_kernelILj256ELj4ELj64ELN6hipcub17WarpLoadAlgorithmE2EdEvPT3_S3_
    .private_segment_fixed_size: 0
    .sgpr_count:     0
    .sgpr_spill_count: 0
    .symbol:         _Z16warp_load_kernelILj256ELj4ELj64ELN6hipcub17WarpLoadAlgorithmE2EdEvPT3_S3_.kd
    .uniform_work_group_size: 1
    .uses_dynamic_stack: false
    .vgpr_count:     0
    .vgpr_spill_count: 0
    .wavefront_size: 32
    .workgroup_processor_mode: 1
  - .args:
      - .address_space:  global
        .offset:         0
        .size:           8
        .value_kind:     global_buffer
      - .address_space:  global
        .offset:         8
        .size:           8
        .value_kind:     global_buffer
    .group_segment_fixed_size: 0
    .kernarg_segment_align: 8
    .kernarg_segment_size: 16
    .language:       OpenCL C
    .language_version:
      - 2
      - 0
    .max_flat_workgroup_size: 256
    .name:           _Z16warp_load_kernelILj256ELj4ELj64ELN6hipcub17WarpLoadAlgorithmE3EdEvPT3_S3_
    .private_segment_fixed_size: 0
    .sgpr_count:     0
    .sgpr_spill_count: 0
    .symbol:         _Z16warp_load_kernelILj256ELj4ELj64ELN6hipcub17WarpLoadAlgorithmE3EdEvPT3_S3_.kd
    .uniform_work_group_size: 1
    .uses_dynamic_stack: false
    .vgpr_count:     0
    .vgpr_spill_count: 0
    .wavefront_size: 32
    .workgroup_processor_mode: 1
  - .args:
      - .address_space:  global
        .offset:         0
        .size:           8
        .value_kind:     global_buffer
      - .address_space:  global
        .offset:         8
        .size:           8
        .value_kind:     global_buffer
    .group_segment_fixed_size: 0
    .kernarg_segment_align: 8
    .kernarg_segment_size: 16
    .language:       OpenCL C
    .language_version:
      - 2
      - 0
    .max_flat_workgroup_size: 256
    .name:           _Z16warp_load_kernelILj256ELj8ELj64ELN6hipcub17WarpLoadAlgorithmE0EdEvPT3_S3_
    .private_segment_fixed_size: 0
    .sgpr_count:     0
    .sgpr_spill_count: 0
    .symbol:         _Z16warp_load_kernelILj256ELj8ELj64ELN6hipcub17WarpLoadAlgorithmE0EdEvPT3_S3_.kd
    .uniform_work_group_size: 1
    .uses_dynamic_stack: false
    .vgpr_count:     0
    .vgpr_spill_count: 0
    .wavefront_size: 32
    .workgroup_processor_mode: 1
  - .args:
      - .address_space:  global
        .offset:         0
        .size:           8
        .value_kind:     global_buffer
      - .address_space:  global
        .offset:         8
        .size:           8
        .value_kind:     global_buffer
    .group_segment_fixed_size: 0
    .kernarg_segment_align: 8
    .kernarg_segment_size: 16
    .language:       OpenCL C
    .language_version:
      - 2
      - 0
    .max_flat_workgroup_size: 256
    .name:           _Z16warp_load_kernelILj256ELj8ELj64ELN6hipcub17WarpLoadAlgorithmE1EdEvPT3_S3_
    .private_segment_fixed_size: 0
    .sgpr_count:     0
    .sgpr_spill_count: 0
    .symbol:         _Z16warp_load_kernelILj256ELj8ELj64ELN6hipcub17WarpLoadAlgorithmE1EdEvPT3_S3_.kd
    .uniform_work_group_size: 1
    .uses_dynamic_stack: false
    .vgpr_count:     0
    .vgpr_spill_count: 0
    .wavefront_size: 32
    .workgroup_processor_mode: 1
  - .args:
      - .address_space:  global
        .offset:         0
        .size:           8
        .value_kind:     global_buffer
      - .address_space:  global
        .offset:         8
        .size:           8
        .value_kind:     global_buffer
    .group_segment_fixed_size: 0
    .kernarg_segment_align: 8
    .kernarg_segment_size: 16
    .language:       OpenCL C
    .language_version:
      - 2
      - 0
    .max_flat_workgroup_size: 256
    .name:           _Z16warp_load_kernelILj256ELj8ELj64ELN6hipcub17WarpLoadAlgorithmE2EdEvPT3_S3_
    .private_segment_fixed_size: 0
    .sgpr_count:     0
    .sgpr_spill_count: 0
    .symbol:         _Z16warp_load_kernelILj256ELj8ELj64ELN6hipcub17WarpLoadAlgorithmE2EdEvPT3_S3_.kd
    .uniform_work_group_size: 1
    .uses_dynamic_stack: false
    .vgpr_count:     0
    .vgpr_spill_count: 0
    .wavefront_size: 32
    .workgroup_processor_mode: 1
  - .args:
      - .address_space:  global
        .offset:         0
        .size:           8
        .value_kind:     global_buffer
      - .address_space:  global
        .offset:         8
        .size:           8
        .value_kind:     global_buffer
    .group_segment_fixed_size: 0
    .kernarg_segment_align: 8
    .kernarg_segment_size: 16
    .language:       OpenCL C
    .language_version:
      - 2
      - 0
    .max_flat_workgroup_size: 256
    .name:           _Z16warp_load_kernelILj256ELj8ELj64ELN6hipcub17WarpLoadAlgorithmE3EdEvPT3_S3_
    .private_segment_fixed_size: 0
    .sgpr_count:     0
    .sgpr_spill_count: 0
    .symbol:         _Z16warp_load_kernelILj256ELj8ELj64ELN6hipcub17WarpLoadAlgorithmE3EdEvPT3_S3_.kd
    .uniform_work_group_size: 1
    .uses_dynamic_stack: false
    .vgpr_count:     0
    .vgpr_spill_count: 0
    .wavefront_size: 32
    .workgroup_processor_mode: 1
  - .args:
      - .address_space:  global
        .offset:         0
        .size:           8
        .value_kind:     global_buffer
      - .address_space:  global
        .offset:         8
        .size:           8
        .value_kind:     global_buffer
    .group_segment_fixed_size: 0
    .kernarg_segment_align: 8
    .kernarg_segment_size: 16
    .language:       OpenCL C
    .language_version:
      - 2
      - 0
    .max_flat_workgroup_size: 256
    .name:           _Z16warp_load_kernelILj256ELj16ELj64ELN6hipcub17WarpLoadAlgorithmE0EdEvPT3_S3_
    .private_segment_fixed_size: 0
    .sgpr_count:     0
    .sgpr_spill_count: 0
    .symbol:         _Z16warp_load_kernelILj256ELj16ELj64ELN6hipcub17WarpLoadAlgorithmE0EdEvPT3_S3_.kd
    .uniform_work_group_size: 1
    .uses_dynamic_stack: false
    .vgpr_count:     0
    .vgpr_spill_count: 0
    .wavefront_size: 32
    .workgroup_processor_mode: 1
  - .args:
      - .address_space:  global
        .offset:         0
        .size:           8
        .value_kind:     global_buffer
      - .address_space:  global
        .offset:         8
        .size:           8
        .value_kind:     global_buffer
    .group_segment_fixed_size: 0
    .kernarg_segment_align: 8
    .kernarg_segment_size: 16
    .language:       OpenCL C
    .language_version:
      - 2
      - 0
    .max_flat_workgroup_size: 256
    .name:           _Z16warp_load_kernelILj256ELj16ELj64ELN6hipcub17WarpLoadAlgorithmE1EdEvPT3_S3_
    .private_segment_fixed_size: 0
    .sgpr_count:     0
    .sgpr_spill_count: 0
    .symbol:         _Z16warp_load_kernelILj256ELj16ELj64ELN6hipcub17WarpLoadAlgorithmE1EdEvPT3_S3_.kd
    .uniform_work_group_size: 1
    .uses_dynamic_stack: false
    .vgpr_count:     0
    .vgpr_spill_count: 0
    .wavefront_size: 32
    .workgroup_processor_mode: 1
  - .args:
      - .address_space:  global
        .offset:         0
        .size:           8
        .value_kind:     global_buffer
      - .address_space:  global
        .offset:         8
        .size:           8
        .value_kind:     global_buffer
    .group_segment_fixed_size: 0
    .kernarg_segment_align: 8
    .kernarg_segment_size: 16
    .language:       OpenCL C
    .language_version:
      - 2
      - 0
    .max_flat_workgroup_size: 256
    .name:           _Z16warp_load_kernelILj256ELj16ELj64ELN6hipcub17WarpLoadAlgorithmE2EdEvPT3_S3_
    .private_segment_fixed_size: 0
    .sgpr_count:     0
    .sgpr_spill_count: 0
    .symbol:         _Z16warp_load_kernelILj256ELj16ELj64ELN6hipcub17WarpLoadAlgorithmE2EdEvPT3_S3_.kd
    .uniform_work_group_size: 1
    .uses_dynamic_stack: false
    .vgpr_count:     0
    .vgpr_spill_count: 0
    .wavefront_size: 32
    .workgroup_processor_mode: 1
  - .args:
      - .address_space:  global
        .offset:         0
        .size:           8
        .value_kind:     global_buffer
      - .address_space:  global
        .offset:         8
        .size:           8
        .value_kind:     global_buffer
    .group_segment_fixed_size: 0
    .kernarg_segment_align: 8
    .kernarg_segment_size: 16
    .language:       OpenCL C
    .language_version:
      - 2
      - 0
    .max_flat_workgroup_size: 256
    .name:           _Z16warp_load_kernelILj256ELj32ELj64ELN6hipcub17WarpLoadAlgorithmE0EdEvPT3_S3_
    .private_segment_fixed_size: 0
    .sgpr_count:     0
    .sgpr_spill_count: 0
    .symbol:         _Z16warp_load_kernelILj256ELj32ELj64ELN6hipcub17WarpLoadAlgorithmE0EdEvPT3_S3_.kd
    .uniform_work_group_size: 1
    .uses_dynamic_stack: false
    .vgpr_count:     0
    .vgpr_spill_count: 0
    .wavefront_size: 32
    .workgroup_processor_mode: 1
  - .args:
      - .address_space:  global
        .offset:         0
        .size:           8
        .value_kind:     global_buffer
      - .address_space:  global
        .offset:         8
        .size:           8
        .value_kind:     global_buffer
    .group_segment_fixed_size: 0
    .kernarg_segment_align: 8
    .kernarg_segment_size: 16
    .language:       OpenCL C
    .language_version:
      - 2
      - 0
    .max_flat_workgroup_size: 256
    .name:           _Z16warp_load_kernelILj256ELj32ELj64ELN6hipcub17WarpLoadAlgorithmE1EdEvPT3_S3_
    .private_segment_fixed_size: 0
    .sgpr_count:     0
    .sgpr_spill_count: 0
    .symbol:         _Z16warp_load_kernelILj256ELj32ELj64ELN6hipcub17WarpLoadAlgorithmE1EdEvPT3_S3_.kd
    .uniform_work_group_size: 1
    .uses_dynamic_stack: false
    .vgpr_count:     0
    .vgpr_spill_count: 0
    .wavefront_size: 32
    .workgroup_processor_mode: 1
  - .args:
      - .address_space:  global
        .offset:         0
        .size:           8
        .value_kind:     global_buffer
      - .address_space:  global
        .offset:         8
        .size:           8
        .value_kind:     global_buffer
    .group_segment_fixed_size: 0
    .kernarg_segment_align: 8
    .kernarg_segment_size: 16
    .language:       OpenCL C
    .language_version:
      - 2
      - 0
    .max_flat_workgroup_size: 256
    .name:           _Z16warp_load_kernelILj256ELj32ELj64ELN6hipcub17WarpLoadAlgorithmE2EdEvPT3_S3_
    .private_segment_fixed_size: 0
    .sgpr_count:     0
    .sgpr_spill_count: 0
    .symbol:         _Z16warp_load_kernelILj256ELj32ELj64ELN6hipcub17WarpLoadAlgorithmE2EdEvPT3_S3_.kd
    .uniform_work_group_size: 1
    .uses_dynamic_stack: false
    .vgpr_count:     0
    .vgpr_spill_count: 0
    .wavefront_size: 32
    .workgroup_processor_mode: 1
  - .args:
      - .address_space:  global
        .offset:         0
        .size:           8
        .value_kind:     global_buffer
      - .address_space:  global
        .offset:         8
        .size:           8
        .value_kind:     global_buffer
    .group_segment_fixed_size: 0
    .kernarg_segment_align: 8
    .kernarg_segment_size: 16
    .language:       OpenCL C
    .language_version:
      - 2
      - 0
    .max_flat_workgroup_size: 256
    .name:           _Z16warp_load_kernelILj256ELj64ELj64ELN6hipcub17WarpLoadAlgorithmE0EdEvPT3_S3_
    .private_segment_fixed_size: 0
    .sgpr_count:     0
    .sgpr_spill_count: 0
    .symbol:         _Z16warp_load_kernelILj256ELj64ELj64ELN6hipcub17WarpLoadAlgorithmE0EdEvPT3_S3_.kd
    .uniform_work_group_size: 1
    .uses_dynamic_stack: false
    .vgpr_count:     0
    .vgpr_spill_count: 0
    .wavefront_size: 32
    .workgroup_processor_mode: 1
  - .args:
      - .address_space:  global
        .offset:         0
        .size:           8
        .value_kind:     global_buffer
      - .address_space:  global
        .offset:         8
        .size:           8
        .value_kind:     global_buffer
    .group_segment_fixed_size: 0
    .kernarg_segment_align: 8
    .kernarg_segment_size: 16
    .language:       OpenCL C
    .language_version:
      - 2
      - 0
    .max_flat_workgroup_size: 256
    .name:           _Z16warp_load_kernelILj256ELj64ELj64ELN6hipcub17WarpLoadAlgorithmE1EdEvPT3_S3_
    .private_segment_fixed_size: 0
    .sgpr_count:     0
    .sgpr_spill_count: 0
    .symbol:         _Z16warp_load_kernelILj256ELj64ELj64ELN6hipcub17WarpLoadAlgorithmE1EdEvPT3_S3_.kd
    .uniform_work_group_size: 1
    .uses_dynamic_stack: false
    .vgpr_count:     0
    .vgpr_spill_count: 0
    .wavefront_size: 32
    .workgroup_processor_mode: 1
  - .args:
      - .address_space:  global
        .offset:         0
        .size:           8
        .value_kind:     global_buffer
      - .address_space:  global
        .offset:         8
        .size:           8
        .value_kind:     global_buffer
    .group_segment_fixed_size: 0
    .kernarg_segment_align: 8
    .kernarg_segment_size: 16
    .language:       OpenCL C
    .language_version:
      - 2
      - 0
    .max_flat_workgroup_size: 256
    .name:           _Z16warp_load_kernelILj256ELj64ELj64ELN6hipcub17WarpLoadAlgorithmE2EdEvPT3_S3_
    .private_segment_fixed_size: 0
    .sgpr_count:     0
    .sgpr_spill_count: 0
    .symbol:         _Z16warp_load_kernelILj256ELj64ELj64ELN6hipcub17WarpLoadAlgorithmE2EdEvPT3_S3_.kd
    .uniform_work_group_size: 1
    .uses_dynamic_stack: false
    .vgpr_count:     0
    .vgpr_spill_count: 0
    .wavefront_size: 32
    .workgroup_processor_mode: 1
amdhsa.target:   amdgcn-amd-amdhsa--gfx1100
amdhsa.version:
  - 1
  - 2
...

	.end_amdgpu_metadata
